;; amdgpu-corpus repo=ROCm/rocFFT kind=compiled arch=gfx906 opt=O3
	.text
	.amdgcn_target "amdgcn-amd-amdhsa--gfx906"
	.amdhsa_code_object_version 6
	.protected	fft_rtc_back_len1122_factors_17_11_6_wgs_204_tpt_102_halfLds_sp_op_CI_CI_sbrr_dirReg ; -- Begin function fft_rtc_back_len1122_factors_17_11_6_wgs_204_tpt_102_halfLds_sp_op_CI_CI_sbrr_dirReg
	.globl	fft_rtc_back_len1122_factors_17_11_6_wgs_204_tpt_102_halfLds_sp_op_CI_CI_sbrr_dirReg
	.p2align	8
	.type	fft_rtc_back_len1122_factors_17_11_6_wgs_204_tpt_102_halfLds_sp_op_CI_CI_sbrr_dirReg,@function
fft_rtc_back_len1122_factors_17_11_6_wgs_204_tpt_102_halfLds_sp_op_CI_CI_sbrr_dirReg: ; @fft_rtc_back_len1122_factors_17_11_6_wgs_204_tpt_102_halfLds_sp_op_CI_CI_sbrr_dirReg
; %bb.0:
	s_load_dwordx4 s[16:19], s[4:5], 0x18
	s_load_dwordx4 s[8:11], s[4:5], 0x0
	;; [unrolled: 1-line block ×3, first 2 shown]
	v_mul_u32_u24_e32 v1, 0x283, v0
	v_lshrrev_b32_e32 v42, 16, v1
	s_waitcnt lgkmcnt(0)
	s_load_dwordx2 s[22:23], s[16:17], 0x0
	s_load_dwordx2 s[20:21], s[18:19], 0x0
	v_cmp_lt_u64_e64 s[0:1], s[10:11], 2
	v_mov_b32_e32 v7, 0
	v_mov_b32_e32 v5, 0
	v_lshl_add_u32 v9, s6, 1, v42
	v_mov_b32_e32 v10, v7
	s_and_b64 vcc, exec, s[0:1]
	v_mov_b32_e32 v6, 0
	s_cbranch_vccnz .LBB0_8
; %bb.1:
	s_load_dwordx2 s[0:1], s[4:5], 0x10
	s_add_u32 s2, s18, 8
	s_addc_u32 s3, s19, 0
	s_add_u32 s6, s16, 8
	s_addc_u32 s7, s17, 0
	v_mov_b32_e32 v5, 0
	s_waitcnt lgkmcnt(0)
	s_add_u32 s24, s0, 8
	v_mov_b32_e32 v6, 0
	v_mov_b32_e32 v1, v5
	s_addc_u32 s25, s1, 0
	s_mov_b64 s[26:27], 1
	v_mov_b32_e32 v2, v6
.LBB0_2:                                ; =>This Inner Loop Header: Depth=1
	s_load_dwordx2 s[28:29], s[24:25], 0x0
                                        ; implicit-def: $vgpr3_vgpr4
	s_waitcnt lgkmcnt(0)
	v_or_b32_e32 v8, s29, v10
	v_cmp_ne_u64_e32 vcc, 0, v[7:8]
	s_and_saveexec_b64 s[0:1], vcc
	s_xor_b64 s[30:31], exec, s[0:1]
	s_cbranch_execz .LBB0_4
; %bb.3:                                ;   in Loop: Header=BB0_2 Depth=1
	v_cvt_f32_u32_e32 v3, s28
	v_cvt_f32_u32_e32 v4, s29
	s_sub_u32 s0, 0, s28
	s_subb_u32 s1, 0, s29
	v_mac_f32_e32 v3, 0x4f800000, v4
	v_rcp_f32_e32 v3, v3
	v_mul_f32_e32 v3, 0x5f7ffffc, v3
	v_mul_f32_e32 v4, 0x2f800000, v3
	v_trunc_f32_e32 v4, v4
	v_mac_f32_e32 v3, 0xcf800000, v4
	v_cvt_u32_f32_e32 v4, v4
	v_cvt_u32_f32_e32 v3, v3
	v_mul_lo_u32 v8, s0, v4
	v_mul_hi_u32 v11, s0, v3
	v_mul_lo_u32 v13, s1, v3
	v_mul_lo_u32 v12, s0, v3
	v_add_u32_e32 v8, v11, v8
	v_add_u32_e32 v8, v8, v13
	v_mul_hi_u32 v11, v3, v12
	v_mul_lo_u32 v13, v3, v8
	v_mul_hi_u32 v15, v3, v8
	v_mul_hi_u32 v14, v4, v12
	v_mul_lo_u32 v12, v4, v12
	v_mul_hi_u32 v16, v4, v8
	v_add_co_u32_e32 v11, vcc, v11, v13
	v_addc_co_u32_e32 v13, vcc, 0, v15, vcc
	v_mul_lo_u32 v8, v4, v8
	v_add_co_u32_e32 v11, vcc, v11, v12
	v_addc_co_u32_e32 v11, vcc, v13, v14, vcc
	v_addc_co_u32_e32 v12, vcc, 0, v16, vcc
	v_add_co_u32_e32 v8, vcc, v11, v8
	v_addc_co_u32_e32 v11, vcc, 0, v12, vcc
	v_add_co_u32_e32 v3, vcc, v3, v8
	v_addc_co_u32_e32 v4, vcc, v4, v11, vcc
	v_mul_lo_u32 v8, s0, v4
	v_mul_hi_u32 v11, s0, v3
	v_mul_lo_u32 v12, s1, v3
	v_mul_lo_u32 v13, s0, v3
	v_add_u32_e32 v8, v11, v8
	v_add_u32_e32 v8, v8, v12
	v_mul_lo_u32 v14, v3, v8
	v_mul_hi_u32 v15, v3, v13
	v_mul_hi_u32 v16, v3, v8
	;; [unrolled: 1-line block ×3, first 2 shown]
	v_mul_lo_u32 v13, v4, v13
	v_mul_hi_u32 v11, v4, v8
	v_add_co_u32_e32 v14, vcc, v15, v14
	v_addc_co_u32_e32 v15, vcc, 0, v16, vcc
	v_mul_lo_u32 v8, v4, v8
	v_add_co_u32_e32 v13, vcc, v14, v13
	v_addc_co_u32_e32 v12, vcc, v15, v12, vcc
	v_addc_co_u32_e32 v11, vcc, 0, v11, vcc
	v_add_co_u32_e32 v8, vcc, v12, v8
	v_addc_co_u32_e32 v11, vcc, 0, v11, vcc
	v_add_co_u32_e32 v8, vcc, v3, v8
	v_addc_co_u32_e32 v11, vcc, v4, v11, vcc
	v_mad_u64_u32 v[3:4], s[0:1], v9, v11, 0
	v_mul_hi_u32 v12, v9, v8
	v_add_co_u32_e32 v13, vcc, v12, v3
	v_addc_co_u32_e32 v14, vcc, 0, v4, vcc
	v_mad_u64_u32 v[3:4], s[0:1], v10, v8, 0
	v_mad_u64_u32 v[11:12], s[0:1], v10, v11, 0
	v_add_co_u32_e32 v3, vcc, v13, v3
	v_addc_co_u32_e32 v3, vcc, v14, v4, vcc
	v_addc_co_u32_e32 v4, vcc, 0, v12, vcc
	v_add_co_u32_e32 v8, vcc, v3, v11
	v_addc_co_u32_e32 v11, vcc, 0, v4, vcc
	v_mul_lo_u32 v12, s29, v8
	v_mul_lo_u32 v13, s28, v11
	v_mad_u64_u32 v[3:4], s[0:1], s28, v8, 0
	v_add3_u32 v4, v4, v13, v12
	v_sub_u32_e32 v12, v10, v4
	v_mov_b32_e32 v13, s29
	v_sub_co_u32_e32 v3, vcc, v9, v3
	v_subb_co_u32_e64 v12, s[0:1], v12, v13, vcc
	v_subrev_co_u32_e64 v13, s[0:1], s28, v3
	v_subbrev_co_u32_e64 v12, s[0:1], 0, v12, s[0:1]
	v_cmp_le_u32_e64 s[0:1], s29, v12
	v_cndmask_b32_e64 v14, 0, -1, s[0:1]
	v_cmp_le_u32_e64 s[0:1], s28, v13
	v_cndmask_b32_e64 v13, 0, -1, s[0:1]
	v_cmp_eq_u32_e64 s[0:1], s29, v12
	v_cndmask_b32_e64 v12, v14, v13, s[0:1]
	v_add_co_u32_e64 v13, s[0:1], 2, v8
	v_addc_co_u32_e64 v14, s[0:1], 0, v11, s[0:1]
	v_add_co_u32_e64 v15, s[0:1], 1, v8
	v_addc_co_u32_e64 v16, s[0:1], 0, v11, s[0:1]
	v_subb_co_u32_e32 v4, vcc, v10, v4, vcc
	v_cmp_ne_u32_e64 s[0:1], 0, v12
	v_cmp_le_u32_e32 vcc, s29, v4
	v_cndmask_b32_e64 v12, v16, v14, s[0:1]
	v_cndmask_b32_e64 v14, 0, -1, vcc
	v_cmp_le_u32_e32 vcc, s28, v3
	v_cndmask_b32_e64 v3, 0, -1, vcc
	v_cmp_eq_u32_e32 vcc, s29, v4
	v_cndmask_b32_e32 v3, v14, v3, vcc
	v_cmp_ne_u32_e32 vcc, 0, v3
	v_cndmask_b32_e64 v3, v15, v13, s[0:1]
	v_cndmask_b32_e32 v4, v11, v12, vcc
	v_cndmask_b32_e32 v3, v8, v3, vcc
.LBB0_4:                                ;   in Loop: Header=BB0_2 Depth=1
	s_andn2_saveexec_b64 s[0:1], s[30:31]
	s_cbranch_execz .LBB0_6
; %bb.5:                                ;   in Loop: Header=BB0_2 Depth=1
	v_cvt_f32_u32_e32 v3, s28
	s_sub_i32 s30, 0, s28
	v_rcp_iflag_f32_e32 v3, v3
	v_mul_f32_e32 v3, 0x4f7ffffe, v3
	v_cvt_u32_f32_e32 v3, v3
	v_mul_lo_u32 v4, s30, v3
	v_mul_hi_u32 v4, v3, v4
	v_add_u32_e32 v3, v3, v4
	v_mul_hi_u32 v3, v9, v3
	v_mul_lo_u32 v4, v3, s28
	v_add_u32_e32 v8, 1, v3
	v_sub_u32_e32 v4, v9, v4
	v_subrev_u32_e32 v11, s28, v4
	v_cmp_le_u32_e32 vcc, s28, v4
	v_cndmask_b32_e32 v4, v4, v11, vcc
	v_cndmask_b32_e32 v3, v3, v8, vcc
	v_add_u32_e32 v8, 1, v3
	v_cmp_le_u32_e32 vcc, s28, v4
	v_cndmask_b32_e32 v3, v3, v8, vcc
	v_mov_b32_e32 v4, v7
.LBB0_6:                                ;   in Loop: Header=BB0_2 Depth=1
	s_or_b64 exec, exec, s[0:1]
	v_mul_lo_u32 v8, v4, s28
	v_mul_lo_u32 v13, v3, s29
	v_mad_u64_u32 v[11:12], s[0:1], v3, s28, 0
	s_load_dwordx2 s[0:1], s[6:7], 0x0
	s_load_dwordx2 s[28:29], s[2:3], 0x0
	v_add3_u32 v8, v12, v13, v8
	v_sub_co_u32_e32 v9, vcc, v9, v11
	v_subb_co_u32_e32 v8, vcc, v10, v8, vcc
	s_waitcnt lgkmcnt(0)
	v_mul_lo_u32 v10, s0, v8
	v_mul_lo_u32 v11, s1, v9
	v_mad_u64_u32 v[5:6], s[0:1], s0, v9, v[5:6]
	v_mul_lo_u32 v8, s28, v8
	v_mul_lo_u32 v12, s29, v9
	v_mad_u64_u32 v[1:2], s[0:1], s28, v9, v[1:2]
	s_add_u32 s26, s26, 1
	s_addc_u32 s27, s27, 0
	s_add_u32 s2, s2, 8
	v_add3_u32 v2, v12, v2, v8
	s_addc_u32 s3, s3, 0
	v_mov_b32_e32 v8, s10
	s_add_u32 s6, s6, 8
	v_mov_b32_e32 v9, s11
	s_addc_u32 s7, s7, 0
	v_cmp_ge_u64_e32 vcc, s[26:27], v[8:9]
	s_add_u32 s24, s24, 8
	v_add3_u32 v6, v11, v6, v10
	s_addc_u32 s25, s25, 0
	s_cbranch_vccnz .LBB0_9
; %bb.7:                                ;   in Loop: Header=BB0_2 Depth=1
	v_mov_b32_e32 v10, v4
	v_mov_b32_e32 v9, v3
	s_branch .LBB0_2
.LBB0_8:
	v_mov_b32_e32 v1, v5
	v_mov_b32_e32 v3, v9
	;; [unrolled: 1-line block ×4, first 2 shown]
.LBB0_9:
	s_load_dwordx2 s[0:1], s[4:5], 0x28
	s_mov_b32 s4, 0x2828283
	v_mul_hi_u32 v7, v0, s4
	s_lshl_b64 s[2:3], s[10:11], 3
	s_add_u32 s4, s18, s2
	s_waitcnt lgkmcnt(0)
	v_cmp_gt_u64_e32 vcc, s[0:1], v[3:4]
	v_mul_u32_u24_e32 v7, 0x66, v7
	v_sub_u32_e32 v0, v0, v7
	s_movk_i32 s0, 0x42
	v_cmp_gt_u32_e64 s[0:1], s0, v0
	s_addc_u32 s5, s19, s3
	s_and_b64 s[10:11], vcc, s[0:1]
	v_mov_b32_e32 v9, 0
	v_mov_b32_e32 v8, 0
                                        ; implicit-def: $vgpr11
                                        ; implicit-def: $vgpr13
                                        ; implicit-def: $vgpr15
                                        ; implicit-def: $vgpr17
                                        ; implicit-def: $vgpr19
                                        ; implicit-def: $vgpr21
                                        ; implicit-def: $vgpr23
                                        ; implicit-def: $vgpr25
                                        ; implicit-def: $vgpr41
                                        ; implicit-def: $vgpr39
                                        ; implicit-def: $vgpr27
                                        ; implicit-def: $vgpr29
                                        ; implicit-def: $vgpr31
                                        ; implicit-def: $vgpr33
                                        ; implicit-def: $vgpr35
                                        ; implicit-def: $vgpr37
	s_and_saveexec_b64 s[6:7], s[10:11]
	s_cbranch_execz .LBB0_11
; %bb.10:
	s_add_u32 s2, s16, s2
	s_addc_u32 s3, s17, s3
	s_load_dwordx2 s[2:3], s[2:3], 0x0
	v_mad_u64_u32 v[7:8], s[10:11], s22, v0, 0
	v_lshlrev_b64 v[5:6], 3, v[5:6]
	s_waitcnt lgkmcnt(0)
	v_mul_lo_u32 v13, s3, v3
	v_mul_lo_u32 v14, s2, v4
	v_mad_u64_u32 v[9:10], s[2:3], s2, v3, 0
	v_mad_u64_u32 v[11:12], s[2:3], s23, v0, v[8:9]
	v_add3_u32 v10, v10, v14, v13
	v_lshlrev_b64 v[9:10], 3, v[9:10]
	v_mov_b32_e32 v8, v11
	v_mov_b32_e32 v11, s13
	v_add_co_u32_e64 v12, s[2:3], s12, v9
	v_add_u32_e32 v13, 0x42, v0
	v_addc_co_u32_e64 v11, s[2:3], v11, v10, s[2:3]
	v_mad_u64_u32 v[9:10], s[2:3], s22, v13, 0
	v_add_co_u32_e64 v15, s[2:3], v12, v5
	v_addc_co_u32_e64 v16, s[2:3], v11, v6, s[2:3]
	v_lshlrev_b64 v[5:6], 3, v[7:8]
	v_mov_b32_e32 v7, v10
	v_mad_u64_u32 v[7:8], s[2:3], s23, v13, v[7:8]
	v_add_u32_e32 v13, 0x84, v0
	v_mad_u64_u32 v[11:12], s[2:3], s22, v13, 0
	v_mov_b32_e32 v10, v7
	v_add_co_u32_e64 v5, s[2:3], v15, v5
	v_lshlrev_b64 v[7:8], 3, v[9:10]
	v_mov_b32_e32 v9, v12
	v_addc_co_u32_e64 v6, s[2:3], v16, v6, s[2:3]
	v_mad_u64_u32 v[9:10], s[2:3], s23, v13, v[9:10]
	v_add_u32_e32 v10, 0xc6, v0
	v_mad_u64_u32 v[13:14], s[2:3], s22, v10, 0
	v_add_co_u32_e64 v38, s[2:3], v15, v7
	v_mov_b32_e32 v12, v9
	v_mov_b32_e32 v9, v14
	v_addc_co_u32_e64 v39, s[2:3], v16, v8, s[2:3]
	v_lshlrev_b64 v[7:8], 3, v[11:12]
	v_mad_u64_u32 v[9:10], s[2:3], s23, v10, v[9:10]
	v_add_u32_e32 v12, 0x108, v0
	v_mad_u64_u32 v[10:11], s[2:3], s22, v12, 0
	v_add_co_u32_e64 v40, s[2:3], v15, v7
	v_mov_b32_e32 v14, v9
	v_mov_b32_e32 v9, v11
	v_addc_co_u32_e64 v41, s[2:3], v16, v8, s[2:3]
	v_lshlrev_b64 v[7:8], 3, v[13:14]
	v_mad_u64_u32 v[11:12], s[2:3], s23, v12, v[9:10]
	v_add_u32_e32 v14, 0x14a, v0
	v_mad_u64_u32 v[12:13], s[2:3], s22, v14, 0
	v_add_co_u32_e64 v43, s[2:3], v15, v7
	v_mov_b32_e32 v9, v13
	v_addc_co_u32_e64 v44, s[2:3], v16, v8, s[2:3]
	v_lshlrev_b64 v[7:8], 3, v[10:11]
	v_mad_u64_u32 v[9:10], s[2:3], s23, v14, v[9:10]
	v_add_u32_e32 v14, 0x18c, v0
	v_mad_u64_u32 v[10:11], s[2:3], s22, v14, 0
	v_add_co_u32_e64 v45, s[2:3], v15, v7
	v_mov_b32_e32 v13, v9
	v_mov_b32_e32 v9, v11
	v_addc_co_u32_e64 v46, s[2:3], v16, v8, s[2:3]
	v_lshlrev_b64 v[7:8], 3, v[12:13]
	v_mad_u64_u32 v[11:12], s[2:3], s23, v14, v[9:10]
	v_add_u32_e32 v14, 0x1ce, v0
	v_mad_u64_u32 v[12:13], s[2:3], s22, v14, 0
	v_add_co_u32_e64 v47, s[2:3], v15, v7
	;; [unrolled: 15-line block ×6, first 2 shown]
	v_mov_b32_e32 v9, v13
	v_addc_co_u32_e64 v64, s[2:3], v16, v8, s[2:3]
	v_lshlrev_b64 v[7:8], 3, v[10:11]
	v_mad_u64_u32 v[9:10], s[2:3], s23, v14, v[9:10]
	v_add_u32_e32 v14, 0x420, v0
	v_mad_u64_u32 v[10:11], s[2:3], s22, v14, 0
	v_add_co_u32_e64 v65, s[2:3], v15, v7
	v_mov_b32_e32 v13, v9
	v_mov_b32_e32 v9, v11
	v_addc_co_u32_e64 v66, s[2:3], v16, v8, s[2:3]
	v_lshlrev_b64 v[7:8], 3, v[12:13]
	v_mad_u64_u32 v[11:12], s[2:3], s23, v14, v[9:10]
	v_add_co_u32_e64 v67, s[2:3], v15, v7
	v_addc_co_u32_e64 v68, s[2:3], v16, v8, s[2:3]
	v_lshlrev_b64 v[7:8], 3, v[10:11]
	v_add_co_u32_e64 v69, s[2:3], v15, v7
	v_addc_co_u32_e64 v70, s[2:3], v16, v8, s[2:3]
	global_load_dwordx2 v[8:9], v[5:6], off
	global_load_dwordx2 v[10:11], v[38:39], off
	;; [unrolled: 1-line block ×15, first 2 shown]
                                        ; kill: killed $vgpr40 killed $vgpr41
                                        ; kill: killed $vgpr65 killed $vgpr66
                                        ; kill: killed $vgpr55 killed $vgpr56
                                        ; kill: killed $vgpr45 killed $vgpr46
                                        ; kill: killed $vgpr59 killed $vgpr60
                                        ; kill: killed $vgpr49 killed $vgpr50
                                        ; kill: killed $vgpr38 killed $vgpr39
                                        ; kill: killed $vgpr63 killed $vgpr64
                                        ; kill: killed $vgpr53 killed $vgpr54
                                        ; kill: killed $vgpr43 killed $vgpr44
                                        ; kill: killed $vgpr57 killed $vgpr58
                                        ; kill: killed $vgpr47 killed $vgpr48
                                        ; kill: killed $vgpr5 killed $vgpr6
                                        ; kill: killed $vgpr61 killed $vgpr62
                                        ; kill: killed $vgpr51 killed $vgpr52
	global_load_dwordx2 v[38:39], v[67:68], off
	global_load_dwordx2 v[40:41], v[69:70], off
.LBB0_11:
	s_or_b64 exec, exec, s[6:7]
	s_waitcnt vmcnt(0)
	v_sub_f32_e32 v5, v11, v41
	v_add_f32_e32 v49, v10, v40
	s_mov_b32 s2, 0xbf1a4643
	v_mul_f32_e32 v57, 0xbf4c4adb, v5
	v_sub_f32_e32 v43, v13, v39
	v_fma_f32 v6, v49, s2, -v57
	v_add_f32_e32 v50, v12, v38
	s_mov_b32 s2, 0xbe8c1d8e
	v_mul_f32_e32 v58, 0x3f763a35, v43
	v_sub_f32_e32 v44, v15, v27
	v_add_f32_e32 v6, v8, v6
	v_fma_f32 v7, v50, s2, -v58
	v_add_f32_e32 v51, v14, v26
	s_mov_b32 s2, 0x3f6eb680
	v_mul_f32_e32 v59, 0xbeb8f4ab, v44
	v_sub_f32_e32 v45, v17, v29
	v_add_f32_e32 v6, v6, v7
	v_fma_f32 v7, v51, s2, -v59
	s_mov_b32 s2, 0xbf59a7d5
	v_add_f32_e32 v52, v16, v28
	v_mul_f32_e32 v60, 0xbf06c442, v45
	v_sub_f32_e32 v46, v19, v31
	v_add_f32_e32 v6, v6, v7
	v_fma_f32 v7, v52, s2, -v60
	s_mov_b32 s2, 0x3dbcf732
	v_add_f32_e32 v53, v18, v30
	;; [unrolled: 6-line block ×4, first 2 shown]
	v_mul_f32_e32 v63, 0xbe3c28d5, v48
	v_add_f32_e32 v6, v6, v7
	v_fma_f32 v7, v55, s2, -v63
	v_add_f32_e32 v6, v6, v7
	v_and_b32_e32 v7, 1, v42
	v_mov_b32_e32 v42, 0x462
	v_cmp_eq_u32_e64 s[2:3], 1, v7
	v_cndmask_b32_e64 v7, 0, v42, s[2:3]
	v_sub_f32_e32 v42, v25, v37
	s_mov_b32 s2, 0x3ee437d1
	v_add_f32_e32 v56, v24, v36
	v_mul_f32_e32 v64, 0x3f65296c, v42
	v_fma_f32 v65, v56, s2, -v64
	v_add_f32_e32 v6, v6, v65
	v_lshlrev_b32_e32 v7, 2, v7
	s_and_saveexec_b64 s[2:3], s[0:1]
	s_cbranch_execz .LBB0_13
; %bb.12:
	v_mul_f32_e32 v71, 0xbf7ba420, v49
	v_mov_b32_e32 v72, v71
	v_mul_f32_e32 v73, 0x3f6eb680, v50
	v_fmac_f32_e32 v72, 0x3e3c28d5, v5
	v_mov_b32_e32 v74, v73
	v_add_f32_e32 v72, v8, v72
	v_fmac_f32_e32 v74, 0xbeb8f4ab, v43
	v_add_f32_e32 v72, v72, v74
	v_mul_f32_e32 v74, 0xbf59a7d5, v51
	v_mov_b32_e32 v75, v74
	v_fmac_f32_e32 v75, 0x3f06c442, v44
	v_add_f32_e32 v72, v72, v75
	v_mul_f32_e32 v75, 0x3f3d2fb0, v52
	v_fmac_f32_e32 v71, 0xbe3c28d5, v5
	v_mov_b32_e32 v76, v75
	v_add_f32_e32 v71, v8, v71
	v_fmac_f32_e32 v73, 0x3eb8f4ab, v43
	v_fmac_f32_e32 v76, 0xbf2c7751, v45
	v_add_f32_e32 v71, v71, v73
	v_fmac_f32_e32 v74, 0xbf06c442, v44
	v_add_f32_e32 v72, v72, v76
	v_mul_f32_e32 v76, 0xbf1a4643, v53
	v_add_f32_e32 v71, v71, v74
	v_fmac_f32_e32 v75, 0x3f2c7751, v45
	v_mul_f32_e32 v73, 0xbf59a7d5, v49
	v_mov_b32_e32 v77, v76
	v_add_f32_e32 v71, v71, v75
	v_fmac_f32_e32 v76, 0xbf4c4adb, v46
	v_mov_b32_e32 v74, v73
	v_mul_f32_e32 v75, 0x3ee437d1, v50
	v_fmac_f32_e32 v77, 0x3f4c4adb, v46
	v_add_f32_e32 v71, v71, v76
	v_fmac_f32_e32 v74, 0x3f06c442, v5
	v_mov_b32_e32 v76, v75
	v_add_f32_e32 v72, v72, v77
	v_mul_f32_e32 v77, 0x3ee437d1, v54
	v_add_f32_e32 v74, v8, v74
	v_fmac_f32_e32 v76, 0xbf65296c, v43
	v_mov_b32_e32 v78, v77
	v_fmac_f32_e32 v77, 0x3f65296c, v47
	v_add_f32_e32 v74, v74, v76
	v_mul_f32_e32 v76, 0x3dbcf732, v51
	v_fmac_f32_e32 v78, 0xbf65296c, v47
	v_add_f32_e32 v71, v71, v77
	v_mov_b32_e32 v77, v76
	v_add_f32_e32 v72, v72, v78
	v_mul_f32_e32 v78, 0xbe8c1d8e, v55
	v_fmac_f32_e32 v77, 0x3f7ee86f, v44
	v_mov_b32_e32 v79, v78
	v_fmac_f32_e32 v78, 0xbf763a35, v48
	v_add_f32_e32 v74, v74, v77
	v_mul_f32_e32 v77, 0xbf1a4643, v52
	v_fmac_f32_e32 v79, 0x3f763a35, v48
	v_add_f32_e32 v71, v71, v78
	v_mov_b32_e32 v78, v77
	v_add_f32_e32 v72, v72, v79
	v_mul_f32_e32 v79, 0x3dbcf732, v56
	v_fmac_f32_e32 v78, 0xbf4c4adb, v45
	v_mov_b32_e32 v80, v79
	v_fmac_f32_e32 v79, 0x3f7ee86f, v42
	v_add_f32_e32 v74, v74, v78
	v_mul_f32_e32 v78, 0x3f6eb680, v53
	v_add_f32_e32 v71, v71, v79
	v_mov_b32_e32 v79, v78
	v_fmac_f32_e32 v79, 0x3eb8f4ab, v46
	v_fmac_f32_e32 v80, 0xbf7ee86f, v42
	v_add_f32_e32 v74, v74, v79
	v_mul_f32_e32 v79, 0xbf7ba420, v54
	v_add_f32_e32 v72, v72, v80
	v_mov_b32_e32 v80, v79
	v_fmac_f32_e32 v80, 0x3e3c28d5, v47
	v_mul_f32_e32 v65, 0xbf1a4643, v49
	v_add_f32_e32 v74, v74, v80
	v_mul_f32_e32 v80, 0x3f3d2fb0, v55
	v_mul_f32_e32 v66, 0xbe8c1d8e, v50
	v_mov_b32_e32 v81, v80
	v_add_f32_e32 v57, v57, v65
	v_mul_f32_e32 v67, 0x3f6eb680, v51
	v_fmac_f32_e32 v81, 0xbf2c7751, v48
	v_add_f32_e32 v57, v8, v57
	v_add_f32_e32 v58, v58, v66
	v_mul_f32_e32 v68, 0xbf59a7d5, v52
	v_add_f32_e32 v74, v74, v81
	v_mul_f32_e32 v81, 0xbe8c1d8e, v56
	v_add_f32_e32 v57, v57, v58
	v_add_f32_e32 v58, v59, v67
	v_mul_f32_e32 v69, 0x3dbcf732, v53
	v_mov_b32_e32 v82, v81
	v_add_f32_e32 v57, v57, v58
	v_add_f32_e32 v58, v60, v68
	v_mul_f32_e32 v70, 0x3f3d2fb0, v54
	v_fmac_f32_e32 v82, 0x3f763a35, v42
	v_fmac_f32_e32 v73, 0xbf06c442, v5
	v_add_f32_e32 v57, v57, v58
	v_add_f32_e32 v58, v61, v69
	;; [unrolled: 1-line block ×3, first 2 shown]
	v_mul_f32_e32 v82, 0xbf7ba420, v55
	v_add_f32_e32 v73, v8, v73
	v_fmac_f32_e32 v75, 0x3f65296c, v43
	v_add_f32_e32 v57, v57, v58
	v_add_f32_e32 v58, v62, v70
	;; [unrolled: 1-line block ×3, first 2 shown]
	v_mul_f32_e32 v75, 0x3ee437d1, v56
	v_add_f32_e32 v57, v57, v58
	v_add_f32_e32 v58, v63, v82
	;; [unrolled: 1-line block ×5, first 2 shown]
	v_mul_f32_e32 v58, 0xbe8c1d8e, v49
	v_mov_b32_e32 v59, v58
	v_mul_f32_e32 v60, 0xbf59a7d5, v50
	v_fmac_f32_e32 v59, 0x3f763a35, v5
	v_mov_b32_e32 v61, v60
	v_add_f32_e32 v59, v8, v59
	v_fmac_f32_e32 v61, 0xbf06c442, v43
	v_add_f32_e32 v59, v59, v61
	v_mul_f32_e32 v61, 0x3f3d2fb0, v51
	v_mov_b32_e32 v62, v61
	v_fmac_f32_e32 v62, 0xbf2c7751, v44
	v_add_f32_e32 v59, v59, v62
	v_mul_f32_e32 v62, 0x3ee437d1, v52
	v_fmac_f32_e32 v58, 0xbf763a35, v5
	v_mov_b32_e32 v63, v62
	v_add_f32_e32 v58, v8, v58
	v_fmac_f32_e32 v60, 0x3f06c442, v43
	v_fmac_f32_e32 v63, 0x3f65296c, v45
	v_add_f32_e32 v58, v58, v60
	v_fmac_f32_e32 v61, 0x3f2c7751, v44
	v_add_f32_e32 v59, v59, v63
	v_mul_f32_e32 v63, 0xbf7ba420, v53
	v_add_f32_e32 v58, v58, v61
	v_fmac_f32_e32 v62, 0xbf65296c, v45
	v_mul_f32_e32 v60, 0x3dbcf732, v49
	v_mov_b32_e32 v64, v63
	v_add_f32_e32 v58, v58, v62
	v_fmac_f32_e32 v63, 0xbe3c28d5, v46
	v_mov_b32_e32 v61, v60
	v_mul_f32_e32 v62, 0xbf7ba420, v50
	v_fmac_f32_e32 v64, 0x3e3c28d5, v46
	v_add_f32_e32 v58, v58, v63
	v_fmac_f32_e32 v61, 0x3f7ee86f, v5
	v_mov_b32_e32 v63, v62
	v_add_f32_e32 v59, v59, v64
	v_mul_f32_e32 v64, 0x3dbcf732, v54
	v_add_f32_e32 v61, v8, v61
	v_fmac_f32_e32 v63, 0x3e3c28d5, v43
	v_mov_b32_e32 v65, v64
	v_fmac_f32_e32 v64, 0x3f7ee86f, v47
	v_add_f32_e32 v61, v61, v63
	v_mul_f32_e32 v63, 0xbe8c1d8e, v51
	v_fmac_f32_e32 v65, 0xbf7ee86f, v47
	v_add_f32_e32 v58, v58, v64
	v_mov_b32_e32 v64, v63
	v_add_f32_e32 v59, v59, v65
	v_mul_f32_e32 v65, 0x3f6eb680, v55
	v_fmac_f32_e32 v64, 0xbf763a35, v44
	v_mov_b32_e32 v66, v65
	v_fmac_f32_e32 v65, 0xbeb8f4ab, v48
	v_add_f32_e32 v61, v61, v64
	v_mul_f32_e32 v64, 0x3f6eb680, v52
	v_fmac_f32_e32 v60, 0xbf7ee86f, v5
	v_fmac_f32_e32 v66, 0x3eb8f4ab, v48
	v_add_f32_e32 v58, v58, v65
	v_mov_b32_e32 v65, v64
	v_add_f32_e32 v60, v8, v60
	v_fmac_f32_e32 v62, 0xbe3c28d5, v43
	v_add_f32_e32 v59, v59, v66
	v_mul_f32_e32 v66, 0xbf1a4643, v56
	v_fmac_f32_e32 v65, 0xbeb8f4ab, v45
	v_add_f32_e32 v60, v60, v62
	v_fmac_f32_e32 v63, 0x3f763a35, v44
	v_mov_b32_e32 v67, v66
	v_fmac_f32_e32 v66, 0xbf4c4adb, v42
	v_add_f32_e32 v61, v61, v65
	v_mul_f32_e32 v65, 0x3ee437d1, v53
	v_add_f32_e32 v60, v60, v63
	v_fmac_f32_e32 v64, 0x3eb8f4ab, v45
	v_mul_f32_e32 v62, 0x3ee437d1, v49
	v_add_f32_e32 v58, v58, v66
	v_mov_b32_e32 v66, v65
	v_add_f32_e32 v60, v60, v64
	v_fmac_f32_e32 v65, 0xbf65296c, v46
	v_mov_b32_e32 v63, v62
	v_mul_f32_e32 v64, 0xbf1a4643, v50
	v_fmac_f32_e32 v66, 0x3f65296c, v46
	v_add_f32_e32 v60, v60, v65
	v_fmac_f32_e32 v63, 0x3f65296c, v5
	v_mov_b32_e32 v65, v64
	v_fmac_f32_e32 v67, 0x3f4c4adb, v42
	v_add_f32_e32 v61, v61, v66
	v_mul_f32_e32 v66, 0xbf59a7d5, v54
	v_add_f32_e32 v63, v8, v63
	v_fmac_f32_e32 v65, 0x3f4c4adb, v43
	v_add_f32_e32 v59, v59, v67
	v_mov_b32_e32 v67, v66
	v_fmac_f32_e32 v66, 0xbf06c442, v47
	v_add_f32_e32 v63, v63, v65
	v_mul_f32_e32 v65, 0xbf7ba420, v51
	v_fmac_f32_e32 v67, 0x3f06c442, v47
	v_add_f32_e32 v60, v60, v66
	v_mov_b32_e32 v66, v65
	v_add_f32_e32 v61, v61, v67
	v_mul_f32_e32 v67, 0xbf1a4643, v55
	v_fmac_f32_e32 v66, 0xbe3c28d5, v44
	v_mov_b32_e32 v68, v67
	v_fmac_f32_e32 v67, 0x3f4c4adb, v48
	v_add_f32_e32 v63, v63, v66
	v_mul_f32_e32 v66, 0xbe8c1d8e, v52
	v_fmac_f32_e32 v62, 0xbf65296c, v5
	v_fmac_f32_e32 v68, 0xbf4c4adb, v48
	v_add_f32_e32 v60, v60, v67
	v_mov_b32_e32 v67, v66
	v_add_f32_e32 v62, v8, v62
	v_fmac_f32_e32 v64, 0xbf4c4adb, v43
	v_add_f32_e32 v61, v61, v68
	v_mul_f32_e32 v68, 0x3f3d2fb0, v56
	v_fmac_f32_e32 v67, 0xbf763a35, v45
	v_add_f32_e32 v62, v62, v64
	v_fmac_f32_e32 v65, 0x3e3c28d5, v44
	v_mov_b32_e32 v69, v68
	v_fmac_f32_e32 v68, 0x3f2c7751, v42
	v_add_f32_e32 v63, v63, v67
	v_mul_f32_e32 v67, 0x3f3d2fb0, v53
	v_add_f32_e32 v62, v62, v65
	v_fmac_f32_e32 v66, 0x3f763a35, v45
	v_mul_f32_e32 v64, 0x3f3d2fb0, v49
	v_add_f32_e32 v60, v60, v68
	v_mov_b32_e32 v68, v67
	v_add_f32_e32 v62, v62, v66
	v_fmac_f32_e32 v67, 0x3f2c7751, v46
	v_mov_b32_e32 v65, v64
	v_mul_f32_e32 v66, 0x3dbcf732, v50
	v_fmac_f32_e32 v68, 0xbf2c7751, v46
	v_add_f32_e32 v62, v62, v67
	v_fmac_f32_e32 v65, 0x3f2c7751, v5
	v_mov_b32_e32 v67, v66
	v_fmac_f32_e32 v69, 0xbf2c7751, v42
	v_add_f32_e32 v63, v63, v68
	v_mul_f32_e32 v68, 0x3f6eb680, v54
	v_add_f32_e32 v65, v8, v65
	v_fmac_f32_e32 v67, 0x3f7ee86f, v43
	v_fmac_f32_e32 v64, 0xbf2c7751, v5
	v_add_f32_e32 v61, v61, v69
	v_mov_b32_e32 v69, v68
	v_fmac_f32_e32 v68, 0xbeb8f4ab, v47
	v_add_f32_e32 v65, v65, v67
	v_mul_f32_e32 v67, 0xbf1a4643, v51
	v_add_f32_e32 v64, v8, v64
	v_fmac_f32_e32 v66, 0xbf7ee86f, v43
	v_mul_f32_e32 v49, 0x3f6eb680, v49
	v_fmac_f32_e32 v69, 0x3eb8f4ab, v47
	v_add_f32_e32 v62, v62, v68
	v_mov_b32_e32 v68, v67
	v_add_f32_e32 v64, v64, v66
	v_mov_b32_e32 v66, v49
	v_add_f32_e32 v63, v63, v69
	v_mul_f32_e32 v69, 0x3dbcf732, v55
	v_fmac_f32_e32 v68, 0x3f4c4adb, v44
	v_fmac_f32_e32 v66, 0x3eb8f4ab, v5
	;; [unrolled: 1-line block ×3, first 2 shown]
	v_mov_b32_e32 v70, v69
	v_fmac_f32_e32 v69, 0xbf7ee86f, v48
	v_add_f32_e32 v65, v65, v68
	v_mul_f32_e32 v68, 0xbf7ba420, v52
	v_fmac_f32_e32 v67, 0xbf4c4adb, v44
	v_add_f32_e32 v66, v8, v66
	v_mul_f32_e32 v50, 0x3f3d2fb0, v50
	v_add_f32_e32 v5, v8, v49
	v_add_f32_e32 v8, v8, v10
	v_fmac_f32_e32 v70, 0x3f7ee86f, v48
	v_add_f32_e32 v62, v62, v69
	v_mov_b32_e32 v69, v68
	v_add_f32_e32 v64, v64, v67
	v_mov_b32_e32 v67, v50
	v_add_f32_e32 v8, v8, v12
	v_add_f32_e32 v63, v63, v70
	v_mul_f32_e32 v70, 0xbf59a7d5, v56
	v_fmac_f32_e32 v69, 0x3e3c28d5, v45
	v_fmac_f32_e32 v67, 0x3f2c7751, v43
	v_mul_f32_e32 v51, 0x3ee437d1, v51
	v_add_f32_e32 v8, v8, v14
	v_mov_b32_e32 v75, v70
	v_fmac_f32_e32 v70, 0xbf06c442, v42
	v_add_f32_e32 v65, v65, v69
	v_mul_f32_e32 v69, 0xbf59a7d5, v53
	v_add_f32_e32 v66, v66, v67
	v_mov_b32_e32 v67, v51
	v_add_f32_e32 v8, v8, v16
	v_add_f32_e32 v62, v62, v70
	v_mov_b32_e32 v70, v69
	v_fmac_f32_e32 v67, 0x3f65296c, v44
	v_mul_f32_e32 v52, 0x3dbcf732, v52
	v_add_f32_e32 v8, v8, v18
	v_fmac_f32_e32 v70, 0xbf06c442, v46
	v_add_f32_e32 v66, v66, v67
	v_mov_b32_e32 v67, v52
	v_add_f32_e32 v8, v8, v20
	v_fmac_f32_e32 v75, 0x3f06c442, v42
	v_add_f32_e32 v65, v65, v70
	v_mul_f32_e32 v70, 0xbe8c1d8e, v54
	v_fmac_f32_e32 v67, 0x3f7ee86f, v45
	v_mul_f32_e32 v53, 0xbe8c1d8e, v53
	v_add_f32_e32 v8, v8, v22
	v_add_f32_e32 v63, v63, v75
	v_mov_b32_e32 v75, v70
	v_add_f32_e32 v66, v66, v67
	v_mov_b32_e32 v67, v53
	v_add_f32_e32 v8, v8, v24
	v_fmac_f32_e32 v75, 0xbf763a35, v47
	v_fmac_f32_e32 v67, 0x3f763a35, v46
	v_mul_f32_e32 v54, 0xbf1a4643, v54
	v_fmac_f32_e32 v50, 0xbf2c7751, v43
	v_add_f32_e32 v8, v8, v36
	v_fmac_f32_e32 v76, 0xbf7ee86f, v44
	v_add_f32_e32 v65, v65, v75
	v_mul_f32_e32 v75, 0x3ee437d1, v55
	v_add_f32_e32 v66, v66, v67
	v_mov_b32_e32 v67, v54
	v_add_f32_e32 v5, v5, v50
	v_fmac_f32_e32 v51, 0xbf65296c, v44
	v_add_f32_e32 v8, v34, v8
	v_add_f32_e32 v73, v73, v76
	v_mov_b32_e32 v76, v75
	v_fmac_f32_e32 v67, 0x3f4c4adb, v47
	v_mul_f32_e32 v55, 0xbf59a7d5, v55
	v_add_f32_e32 v5, v5, v51
	v_fmac_f32_e32 v52, 0xbf7ee86f, v45
	v_add_f32_e32 v8, v32, v8
	v_fmac_f32_e32 v77, 0x3f4c4adb, v45
	v_fmac_f32_e32 v76, 0xbf65296c, v48
	;; [unrolled: 1-line block ×3, first 2 shown]
	v_add_f32_e32 v66, v66, v67
	v_mov_b32_e32 v67, v55
	v_add_f32_e32 v5, v5, v52
	v_fmac_f32_e32 v53, 0xbf763a35, v46
	v_add_f32_e32 v8, v30, v8
	v_add_f32_e32 v73, v73, v77
	v_fmac_f32_e32 v78, 0xbeb8f4ab, v46
	v_add_f32_e32 v65, v65, v76
	v_mul_f32_e32 v76, 0x3f6eb680, v56
	v_add_f32_e32 v64, v64, v68
	v_fmac_f32_e32 v69, 0x3f06c442, v46
	v_fmac_f32_e32 v67, 0x3f06c442, v48
	v_mul_f32_e32 v56, 0xbf7ba420, v56
	v_add_f32_e32 v5, v5, v53
	v_fmac_f32_e32 v54, 0xbf4c4adb, v47
	v_add_f32_e32 v8, v28, v8
	v_add_f32_e32 v73, v73, v78
	v_fmac_f32_e32 v79, 0xbe3c28d5, v47
	v_mov_b32_e32 v77, v76
	v_add_f32_e32 v64, v64, v69
	v_fmac_f32_e32 v70, 0x3f763a35, v47
	v_add_f32_e32 v66, v66, v67
	v_mov_b32_e32 v67, v56
	v_add_f32_e32 v5, v5, v54
	v_fmac_f32_e32 v55, 0xbf06c442, v48
	v_add_f32_e32 v8, v26, v8
	v_add_f32_e32 v73, v73, v79
	v_fmac_f32_e32 v80, 0x3f2c7751, v48
	v_fmac_f32_e32 v81, 0xbf763a35, v42
	;; [unrolled: 1-line block ×3, first 2 shown]
	v_add_f32_e32 v64, v64, v70
	v_fmac_f32_e32 v75, 0x3f65296c, v48
	v_fmac_f32_e32 v76, 0x3eb8f4ab, v42
	;; [unrolled: 1-line block ×3, first 2 shown]
	v_add_f32_e32 v5, v5, v55
	v_fmac_f32_e32 v56, 0xbe3c28d5, v42
	v_add_f32_e32 v8, v38, v8
	v_mul_u32_u24_e32 v42, 0x44, v0
	v_add_f32_e32 v73, v73, v80
	v_add_f32_e32 v64, v64, v75
	;; [unrolled: 1-line block ×4, first 2 shown]
	v_add3_u32 v42, 0, v42, v7
	v_add_f32_e32 v73, v73, v81
	v_add_f32_e32 v65, v65, v77
	;; [unrolled: 1-line block ×4, first 2 shown]
	ds_write2_b32 v42, v8, v5 offset1:1
	ds_write2_b32 v42, v64, v62 offset0:2 offset1:3
	ds_write2_b32 v42, v60, v58 offset0:4 offset1:5
	;; [unrolled: 1-line block ×7, first 2 shown]
	ds_write_b32 v42, v66 offset:64
.LBB0_13:
	s_or_b64 exec, exec, s[2:3]
	v_sub_f32_e32 v66, v10, v40
	v_mul_f32_e32 v67, 0xbf4c4adb, v66
	v_sub_f32_e32 v63, v12, v38
	v_add_f32_e32 v65, v11, v41
	v_mov_b32_e32 v5, v67
	v_mul_f32_e32 v64, 0x3f763a35, v63
	v_fmac_f32_e32 v5, 0xbf1a4643, v65
	v_add_f32_e32 v62, v13, v39
	v_mov_b32_e32 v8, v64
	v_sub_f32_e32 v60, v14, v26
	v_add_f32_e32 v5, v9, v5
	v_fmac_f32_e32 v8, 0xbe8c1d8e, v62
	v_mul_f32_e32 v61, 0xbeb8f4ab, v60
	v_add_f32_e32 v5, v5, v8
	v_add_f32_e32 v59, v15, v27
	v_mov_b32_e32 v8, v61
	v_sub_f32_e32 v57, v16, v28
	v_fmac_f32_e32 v8, 0x3f6eb680, v59
	v_mul_f32_e32 v58, 0xbf06c442, v57
	v_add_f32_e32 v5, v5, v8
	v_add_f32_e32 v56, v17, v29
	v_mov_b32_e32 v8, v58
	v_sub_f32_e32 v54, v18, v30
	;; [unrolled: 6-line block ×4, first 2 shown]
	v_lshlrev_b32_e32 v10, 2, v0
	v_fmac_f32_e32 v8, 0x3f3d2fb0, v38
	v_mul_f32_e32 v34, 0xbe3c28d5, v32
	v_add_u32_e32 v22, 0, v10
	v_add_f32_e32 v5, v5, v8
	v_add_f32_e32 v30, v23, v35
	v_mov_b32_e32 v8, v34
	v_add_u32_e32 v26, v22, v7
	v_fmac_f32_e32 v8, 0xbf7ba420, v30
	v_add3_u32 v28, 0, v7, v10
	v_add_u32_e32 v10, 0x400, v26
	v_add_u32_e32 v12, 0x600, v26
	v_add_u32_e32 v14, 0xa00, v26
	v_add_u32_e32 v16, 0xc00, v26
	v_add_f32_e32 v8, v5, v8
	v_sub_f32_e32 v20, v24, v36
	s_waitcnt lgkmcnt(0)
	s_barrier
	ds_read_b32 v5, v28
	ds_read2_b32 v[50:51], v26 offset0:102 offset1:204
	ds_read2_b32 v[48:49], v10 offset0:50 offset1:152
	;; [unrolled: 1-line block ×5, first 2 shown]
	v_mul_f32_e32 v24, 0x3f65296c, v20
	v_add_f32_e32 v18, v25, v37
	v_mov_b32_e32 v36, v24
	v_fmac_f32_e32 v36, 0x3ee437d1, v18
	v_add_f32_e32 v8, v8, v36
	s_waitcnt lgkmcnt(0)
	s_barrier
	s_and_saveexec_b64 s[2:3], s[0:1]
	s_cbranch_execz .LBB0_15
; %bb.14:
	v_add_f32_e32 v11, v9, v11
	v_add_f32_e32 v11, v11, v13
	;; [unrolled: 1-line block ×13, first 2 shown]
	v_mul_f32_e32 v36, 0xbf1a4643, v65
	v_add_f32_e32 v11, v27, v11
	v_mul_f32_e32 v13, 0xbeb8f4ab, v66
	s_mov_b32 s6, 0x3f6eb680
	v_mul_f32_e32 v17, 0xbf2c7751, v66
	s_mov_b32 s1, 0x3f3d2fb0
	;; [unrolled: 2-line block ×7, first 2 shown]
	v_add_f32_e32 v11, v39, v11
	v_fma_f32 v15, v65, s6, -v13
	v_fmac_f32_e32 v13, 0x3f6eb680, v65
	v_fma_f32 v19, v65, s1, -v17
	v_fmac_f32_e32 v17, 0x3f3d2fb0, v65
	;; [unrolled: 2-line block ×5, first 2 shown]
	v_sub_f32_e32 v33, v36, v67
	v_fma_f32 v36, v65, s10, -v35
	v_fmac_f32_e32 v35, 0xbf59a7d5, v65
	v_fma_f32 v39, v65, s12, -v37
	v_fmac_f32_e32 v37, 0xbf7ba420, v65
	v_add_f32_e32 v15, v9, v15
	v_add_f32_e32 v13, v9, v13
	;; [unrolled: 1-line block ×15, first 2 shown]
	v_mul_f32_e32 v37, 0xbf2c7751, v63
	v_add_f32_e32 v11, v41, v11
	v_fma_f32 v41, v62, s1, -v37
	v_fmac_f32_e32 v37, 0x3f3d2fb0, v62
	v_add_f32_e32 v13, v13, v37
	v_mul_f32_e32 v37, 0xbf7ee86f, v63
	v_add_f32_e32 v15, v15, v41
	v_fma_f32 v41, v62, s0, -v37
	v_fmac_f32_e32 v37, 0x3dbcf732, v62
	v_add_f32_e32 v17, v17, v37
	v_mul_f32_e32 v37, 0xbf4c4adb, v63
	s_mov_b32 s11, 0xbf1a4643
	v_add_f32_e32 v19, v19, v41
	v_fma_f32 v41, v62, s11, -v37
	v_fmac_f32_e32 v37, 0xbf1a4643, v62
	v_add_f32_e32 v21, v21, v37
	v_mul_f32_e32 v37, 0xbe3c28d5, v63
	v_add_f32_e32 v23, v23, v41
	v_fma_f32 v41, v62, s12, -v37
	v_fmac_f32_e32 v37, 0xbf7ba420, v62
	v_add_f32_e32 v25, v25, v37
	v_mul_f32_e32 v37, 0x3f06c442, v63
	v_mul_f32_e32 v68, 0xbe8c1d8e, v62
	v_add_f32_e32 v27, v27, v41
	v_fma_f32 v41, v62, s10, -v37
	v_fmac_f32_e32 v37, 0xbf59a7d5, v62
	v_add_f32_e32 v29, v29, v37
	v_sub_f32_e32 v37, v68, v64
	v_add_f32_e32 v33, v33, v37
	v_mul_f32_e32 v37, 0x3f65296c, v63
	v_add_f32_e32 v31, v31, v41
	v_fma_f32 v41, v62, s13, -v37
	v_fmac_f32_e32 v37, 0x3ee437d1, v62
	v_add_f32_e32 v35, v35, v37
	v_mul_f32_e32 v37, 0x3eb8f4ab, v63
	v_add_f32_e32 v36, v36, v41
	v_fma_f32 v41, v62, s6, -v37
	v_fmac_f32_e32 v37, 0x3f6eb680, v62
	v_add_f32_e32 v9, v9, v37
	v_mul_f32_e32 v37, 0xbf65296c, v60
	v_add_f32_e32 v39, v39, v41
	v_fma_f32 v41, v59, s13, -v37
	v_fmac_f32_e32 v37, 0x3ee437d1, v59
	v_add_f32_e32 v13, v13, v37
	v_mul_f32_e32 v37, 0xbf4c4adb, v60
	v_add_f32_e32 v15, v15, v41
	v_fma_f32 v41, v59, s11, -v37
	v_fmac_f32_e32 v37, 0xbf1a4643, v59
	v_add_f32_e32 v17, v17, v37
	v_mul_f32_e32 v37, 0x3e3c28d5, v60
	v_add_f32_e32 v19, v19, v41
	v_fma_f32 v41, v59, s12, -v37
	v_fmac_f32_e32 v37, 0xbf7ba420, v59
	v_add_f32_e32 v21, v21, v37
	v_mul_f32_e32 v37, 0x3f763a35, v60
	v_add_f32_e32 v23, v23, v41
	v_fma_f32 v41, v59, s7, -v37
	v_fmac_f32_e32 v37, 0xbe8c1d8e, v59
	v_add_f32_e32 v25, v25, v37
	v_mul_f32_e32 v37, 0x3f2c7751, v60
	v_mul_f32_e32 v69, 0x3f6eb680, v59
	v_add_f32_e32 v27, v27, v41
	v_fma_f32 v41, v59, s1, -v37
	v_fmac_f32_e32 v37, 0x3f3d2fb0, v59
	v_add_f32_e32 v29, v29, v37
	v_sub_f32_e32 v37, v69, v61
	v_add_f32_e32 v33, v33, v37
	v_mul_f32_e32 v37, 0xbf7ee86f, v60
	v_add_f32_e32 v31, v31, v41
	v_fma_f32 v41, v59, s0, -v37
	v_fmac_f32_e32 v37, 0x3dbcf732, v59
	v_add_f32_e32 v35, v35, v37
	v_mul_f32_e32 v37, 0xbf06c442, v60
	v_add_f32_e32 v36, v36, v41
	v_fma_f32 v41, v59, s10, -v37
	v_fmac_f32_e32 v37, 0xbf59a7d5, v59
	v_add_f32_e32 v9, v9, v37
	v_mul_f32_e32 v37, 0xbf7ee86f, v57
	v_add_f32_e32 v39, v39, v41
	v_fma_f32 v41, v56, s0, -v37
	v_fmac_f32_e32 v37, 0x3dbcf732, v56
	v_add_f32_e32 v13, v13, v37
	v_mul_f32_e32 v37, 0xbe3c28d5, v57
	v_add_f32_e32 v15, v15, v41
	v_fma_f32 v41, v56, s12, -v37
	v_fmac_f32_e32 v37, 0xbf7ba420, v56
	v_add_f32_e32 v17, v17, v37
	v_mul_f32_e32 v37, 0x3f763a35, v57
	;; [unrolled: 38-line block ×4, first 2 shown]
	v_add_f32_e32 v19, v19, v41
	v_fma_f32 v41, v38, s6, -v37
	v_fmac_f32_e32 v37, 0x3f6eb680, v38
	v_add_f32_e32 v21, v21, v37
	v_mul_f32_e32 v37, 0xbf06c442, v40
	v_add_f32_e32 v23, v23, v41
	v_fma_f32 v41, v38, s10, -v37
	v_fmac_f32_e32 v37, 0xbf59a7d5, v38
	v_add_f32_e32 v25, v25, v37
	v_mul_f32_e32 v37, 0x3f7ee86f, v40
	v_mul_f32_e32 v72, 0x3f3d2fb0, v38
	v_add_f32_e32 v27, v27, v41
	v_fma_f32 v41, v38, s0, -v37
	v_fmac_f32_e32 v37, 0x3dbcf732, v38
	v_add_f32_e32 v29, v29, v37
	v_sub_f32_e32 v37, v72, v52
	v_add_f32_e32 v33, v33, v37
	v_mul_f32_e32 v37, 0xbe3c28d5, v40
	v_add_f32_e32 v31, v31, v41
	v_fma_f32 v41, v38, s12, -v37
	v_fmac_f32_e32 v37, 0xbf7ba420, v38
	v_add_f32_e32 v35, v35, v37
	v_mul_f32_e32 v37, 0x3f65296c, v40
	v_fma_f32 v40, v38, s13, -v37
	v_fmac_f32_e32 v37, 0x3ee437d1, v38
	v_add_f32_e32 v9, v9, v37
	v_mul_f32_e32 v37, 0xbf06c442, v32
	;; [unrolled: 4-line block ×3, first 2 shown]
	v_add_f32_e32 v15, v15, v38
	v_fma_f32 v38, v30, s13, -v37
	v_fmac_f32_e32 v37, 0x3ee437d1, v30
	v_add_f32_e32 v17, v17, v37
	v_mul_f32_e32 v37, 0xbf7ee86f, v32
	v_add_f32_e32 v19, v19, v38
	v_fma_f32 v38, v30, s0, -v37
	v_fmac_f32_e32 v37, 0x3dbcf732, v30
	v_add_f32_e32 v21, v21, v37
	v_mul_f32_e32 v37, 0x3f4c4adb, v32
	v_mul_f32_e32 v73, 0xbf7ba420, v30
	v_add_f32_e32 v23, v23, v38
	v_fma_f32 v38, v30, s11, -v37
	v_fmac_f32_e32 v37, 0xbf1a4643, v30
	v_add_f32_e32 v25, v25, v37
	v_mul_f32_e32 v37, 0xbeb8f4ab, v32
	v_sub_f32_e32 v34, v73, v34
	v_add_f32_e32 v27, v27, v38
	v_fma_f32 v38, v30, s6, -v37
	v_fmac_f32_e32 v37, 0x3f6eb680, v30
	v_add_f32_e32 v33, v33, v34
	v_mul_f32_e32 v34, 0x3f2c7751, v32
	v_add_f32_e32 v29, v29, v37
	v_fma_f32 v37, v30, s1, -v34
	v_fmac_f32_e32 v34, 0x3f3d2fb0, v30
	v_mul_f32_e32 v32, 0xbf763a35, v32
	v_add_f32_e32 v34, v35, v34
	v_fma_f32 v35, v30, s7, -v32
	v_fmac_f32_e32 v32, 0xbe8c1d8e, v30
	;; [unrolled: 4-line block ×3, first 2 shown]
	v_add_f32_e32 v13, v13, v30
	v_mul_f32_e32 v30, 0x3eb8f4ab, v20
	v_add_f32_e32 v15, v15, v32
	v_fma_f32 v32, v18, s6, -v30
	v_fmac_f32_e32 v30, 0x3f6eb680, v18
	v_add_f32_e32 v17, v17, v30
	v_mul_f32_e32 v30, 0xbf06c442, v20
	v_add_f32_e32 v19, v19, v32
	v_fma_f32 v32, v18, s10, -v30
	v_fmac_f32_e32 v30, 0xbf59a7d5, v18
	;; [unrolled: 5-line block ×3, first 2 shown]
	v_add_f32_e32 v25, v25, v30
	v_mul_f32_e32 v30, 0xbf4c4adb, v20
	v_mul_f32_e32 v74, 0x3ee437d1, v18
	v_add_f32_e32 v27, v27, v32
	v_fma_f32 v32, v18, s11, -v30
	v_fmac_f32_e32 v30, 0xbf1a4643, v18
	v_add_f32_e32 v31, v31, v38
	v_add_f32_e32 v29, v29, v30
	v_sub_f32_e32 v24, v74, v24
	v_mul_f32_e32 v30, 0xbf763a35, v20
	v_mul_f32_e32 v20, 0x3f7ee86f, v20
	v_add_f32_e32 v36, v36, v41
	v_add_f32_e32 v39, v39, v40
	;; [unrolled: 1-line block ×4, first 2 shown]
	v_fma_f32 v32, v18, s7, -v30
	v_fmac_f32_e32 v30, 0xbe8c1d8e, v18
	v_fma_f32 v33, v18, s0, -v20
	v_fmac_f32_e32 v20, 0x3dbcf732, v18
	v_lshlrev_b32_e32 v18, 6, v0
	v_add_f32_e32 v36, v36, v37
	v_add_f32_e32 v35, v39, v35
	v_add3_u32 v18, v22, v18, v7
	v_add_f32_e32 v32, v36, v32
	v_add_f32_e32 v30, v34, v30
	;; [unrolled: 1-line block ×4, first 2 shown]
	ds_write2_b32 v18, v11, v15 offset1:1
	ds_write2_b32 v18, v19, v23 offset0:2 offset1:3
	ds_write2_b32 v18, v27, v31 offset0:4 offset1:5
	;; [unrolled: 1-line block ×7, first 2 shown]
	ds_write_b32 v18, v13 offset:64
.LBB0_15:
	s_or_b64 exec, exec, s[2:3]
	s_movk_i32 s0, 0xf1
	v_mul_lo_u16_sdwa v9, v0, s0 dst_sel:DWORD dst_unused:UNUSED_PAD src0_sel:BYTE_0 src1_sel:DWORD
	v_lshrrev_b16_e32 v27, 12, v9
	v_mul_lo_u16_e32 v9, 17, v27
	v_sub_u16_e32 v41, v0, v9
	v_mov_b32_e32 v9, 10
	v_mul_u32_u24_sdwa v9, v41, v9 dst_sel:DWORD dst_unused:UNUSED_PAD src0_sel:BYTE_0 src1_sel:DWORD
	v_lshlrev_b32_e32 v9, 3, v9
	s_load_dwordx2 s[2:3], s[4:5], 0x0
	s_waitcnt lgkmcnt(0)
	s_barrier
	global_load_dwordx4 v[17:20], v9, s[8:9]
	global_load_dwordx4 v[52:55], v9, s[8:9] offset:16
	global_load_dwordx4 v[56:59], v9, s[8:9] offset:32
	global_load_dwordx4 v[60:63], v9, s[8:9] offset:48
	global_load_dwordx4 v[64:67], v9, s[8:9] offset:64
	ds_read_b32 v23, v28
	ds_read2_b32 v[24:25], v26 offset0:102 offset1:204
	ds_read2_b32 v[9:10], v10 offset0:50 offset1:152
	;; [unrolled: 1-line block ×5, first 2 shown]
	s_mov_b32 s4, 0x3f575c64
	s_mov_b32 s0, 0x3ed4b147
	;; [unrolled: 1-line block ×5, first 2 shown]
	s_waitcnt vmcnt(0) lgkmcnt(0)
	s_barrier
	v_mul_f32_e32 v37, v24, v18
	v_mul_f32_e32 v15, v50, v18
	;; [unrolled: 1-line block ×4, first 2 shown]
	v_fmac_f32_e32 v37, v50, v17
	v_mul_f32_e32 v30, v9, v53
	v_fmac_f32_e32 v34, v51, v19
	v_fma_f32 v32, v9, v52, -v18
	v_add_f32_e32 v9, v5, v37
	v_mul_f32_e32 v21, v10, v55
	v_fmac_f32_e32 v30, v48, v52
	v_add_f32_e32 v9, v9, v34
	v_mul_f32_e32 v13, v11, v57
	v_fmac_f32_e32 v21, v49, v54
	v_add_f32_e32 v9, v9, v30
	v_mul_f32_e32 v29, v46, v57
	v_mul_f32_e32 v14, v12, v59
	;; [unrolled: 1-line block ×4, first 2 shown]
	v_fmac_f32_e32 v13, v46, v56
	v_add_f32_e32 v9, v9, v21
	v_mul_f32_e32 v38, v44, v61
	v_fma_f32 v40, v24, v17, -v15
	v_fmac_f32_e32 v14, v47, v58
	v_fmac_f32_e32 v22, v44, v60
	v_fma_f32 v44, v71, v66, -v57
	v_add_f32_e32 v9, v9, v13
	v_mul_f32_e32 v16, v51, v20
	v_mul_f32_e32 v31, v69, v63
	;; [unrolled: 1-line block ×3, first 2 shown]
	v_fma_f32 v15, v11, v56, -v29
	v_sub_f32_e32 v11, v40, v44
	v_add_f32_e32 v9, v9, v14
	v_mul_f32_e32 v20, v49, v55
	v_mul_f32_e32 v35, v70, v65
	v_fma_f32 v36, v25, v19, -v16
	v_fmac_f32_e32 v31, v45, v62
	v_fmac_f32_e32 v39, v43, v66
	v_mul_f32_e32 v19, 0xbf4178ce, v11
	v_add_f32_e32 v9, v9, v22
	v_mul_f32_e32 v33, v47, v59
	v_fma_f32 v24, v10, v54, -v20
	v_fmac_f32_e32 v35, v42, v64
	v_add_f32_e32 v10, v37, v39
	v_mov_b32_e32 v43, v19
	v_add_f32_e32 v9, v9, v31
	v_mul_f32_e32 v55, v42, v65
	v_fma_f32 v16, v12, v58, -v33
	v_mul_f32_e32 v12, 0xbf0a6770, v11
	v_mul_f32_e32 v17, 0xbf68dda4, v11
	;; [unrolled: 1-line block ×3, first 2 shown]
	v_add_f32_e32 v9, v9, v35
	v_fmac_f32_e32 v43, 0xbf27a4f4, v10
	v_mul_f32_e32 v11, 0xbe903f40, v11
	v_mul_f32_e32 v53, v45, v63
	v_fma_f32 v29, v68, v60, -v38
	v_fma_f32 v38, v70, v64, -v55
	v_mov_b32_e32 v20, v12
	v_mov_b32_e32 v25, v17
	;; [unrolled: 1-line block ×3, first 2 shown]
	v_add_f32_e32 v45, v9, v39
	v_add_f32_e32 v9, v5, v43
	v_mov_b32_e32 v43, v11
	v_fma_f32 v12, v10, s4, -v12
	v_fma_f32 v17, v10, s0, -v17
	;; [unrolled: 1-line block ×3, first 2 shown]
	v_fmac_f32_e32 v20, 0x3f575c64, v10
	v_fmac_f32_e32 v25, 0x3ed4b147, v10
	;; [unrolled: 1-line block ×3, first 2 shown]
	v_fma_f32 v19, v10, s5, -v19
	v_fmac_f32_e32 v43, 0xbf75a155, v10
	v_fma_f32 v10, v10, s6, -v11
	v_sub_f32_e32 v11, v36, v38
	v_add_f32_e32 v12, v5, v12
	v_add_f32_e32 v17, v5, v17
	;; [unrolled: 1-line block ×10, first 2 shown]
	v_mul_f32_e32 v46, 0xbf68dda4, v11
	v_mov_b32_e32 v47, v46
	v_fma_f32 v46, v10, s0, -v46
	v_fmac_f32_e32 v47, 0x3ed4b147, v10
	v_add_f32_e32 v12, v46, v12
	v_mul_f32_e32 v46, 0xbf4178ce, v11
	v_add_f32_e32 v20, v47, v20
	v_mov_b32_e32 v47, v46
	v_fma_f32 v46, v10, s5, -v46
	v_fmac_f32_e32 v47, 0xbf27a4f4, v10
	v_add_f32_e32 v17, v46, v17
	v_mul_f32_e32 v46, 0x3e903f40, v11
	v_add_f32_e32 v25, v47, v25
	;; [unrolled: 6-line block ×3, first 2 shown]
	v_mov_b32_e32 v47, v46
	v_fma_f32 v46, v10, s1, -v46
	v_mul_f32_e32 v11, 0x3f0a6770, v11
	v_fma_f32 v33, v69, v62, -v53
	v_add_f32_e32 v19, v46, v19
	v_mov_b32_e32 v46, v11
	v_fmac_f32_e32 v47, 0xbe11bafb, v10
	v_fmac_f32_e32 v46, 0x3f575c64, v10
	v_fma_f32 v10, v10, s4, -v11
	v_sub_f32_e32 v11, v32, v33
	v_add_f32_e32 v43, v46, v43
	v_add_f32_e32 v5, v10, v5
	;; [unrolled: 1-line block ×3, first 2 shown]
	v_mul_f32_e32 v46, 0xbf7d64f0, v11
	v_add_f32_e32 v9, v47, v9
	v_mov_b32_e32 v47, v46
	v_fma_f32 v46, v10, s1, -v46
	v_fmac_f32_e32 v47, 0xbe11bafb, v10
	v_add_f32_e32 v12, v46, v12
	v_mul_f32_e32 v46, 0x3e903f40, v11
	v_add_f32_e32 v20, v47, v20
	v_mov_b32_e32 v47, v46
	v_fma_f32 v46, v10, s6, -v46
	v_fmac_f32_e32 v47, 0xbf75a155, v10
	v_add_f32_e32 v17, v46, v17
	;; [unrolled: 6-line block ×3, first 2 shown]
	v_mul_f32_e32 v46, 0xbf0a6770, v11
	v_add_f32_e32 v42, v47, v42
	v_mov_b32_e32 v47, v46
	v_fma_f32 v46, v10, s4, -v46
	v_mul_f32_e32 v11, 0xbf4178ce, v11
	v_add_f32_e32 v19, v46, v19
	v_mov_b32_e32 v46, v11
	v_fmac_f32_e32 v47, 0x3f575c64, v10
	v_fmac_f32_e32 v46, 0xbf27a4f4, v10
	v_fma_f32 v10, v10, s5, -v11
	v_sub_f32_e32 v11, v24, v29
	v_add_f32_e32 v43, v46, v43
	v_add_f32_e32 v5, v10, v5
	;; [unrolled: 1-line block ×3, first 2 shown]
	v_mul_f32_e32 v46, 0xbf4178ce, v11
	v_add_f32_e32 v9, v47, v9
	v_mov_b32_e32 v47, v46
	v_fma_f32 v46, v10, s5, -v46
	v_fmac_f32_e32 v47, 0xbf27a4f4, v10
	v_add_f32_e32 v12, v46, v12
	v_mul_f32_e32 v46, 0x3f7d64f0, v11
	v_add_f32_e32 v20, v47, v20
	v_mov_b32_e32 v47, v46
	v_fma_f32 v46, v10, s1, -v46
	v_fmac_f32_e32 v47, 0xbe11bafb, v10
	v_add_f32_e32 v17, v46, v17
	;; [unrolled: 6-line block ×3, first 2 shown]
	v_mul_f32_e32 v46, 0xbe903f40, v11
	v_add_f32_e32 v42, v47, v42
	v_mov_b32_e32 v47, v46
	v_fma_f32 v46, v10, s6, -v46
	v_mul_f32_e32 v11, 0x3f68dda4, v11
	v_add_f32_e32 v19, v46, v19
	v_mov_b32_e32 v46, v11
	v_fmac_f32_e32 v47, 0xbf75a155, v10
	v_fmac_f32_e32 v46, 0x3ed4b147, v10
	v_fma_f32 v10, v10, s0, -v11
	v_sub_f32_e32 v48, v15, v16
	v_add_f32_e32 v43, v46, v43
	v_add_f32_e32 v46, v10, v5
	v_mul_f32_e32 v5, 0xbe903f40, v48
	v_add_f32_e32 v9, v47, v9
	v_add_f32_e32 v47, v13, v14
	v_mov_b32_e32 v10, v5
	v_fmac_f32_e32 v10, 0xbf75a155, v47
	v_add_f32_e32 v20, v10, v20
	v_mul_f32_e32 v10, 0x3f0a6770, v48
	v_fma_f32 v5, v47, s6, -v5
	v_mov_b32_e32 v11, v10
	v_fma_f32 v10, v47, s4, -v10
	v_add_f32_e32 v5, v5, v12
	v_fmac_f32_e32 v11, 0x3f575c64, v47
	v_add_f32_e32 v12, v10, v17
	v_mul_f32_e32 v10, 0xbf4178ce, v48
	v_add_f32_e32 v25, v11, v25
	v_mov_b32_e32 v11, v10
	v_fmac_f32_e32 v11, 0xbf27a4f4, v47
	v_fma_f32 v10, v47, s5, -v10
	v_add_f32_e32 v17, v11, v42
	v_add_f32_e32 v11, v10, v18
	v_mul_f32_e32 v10, 0x3f68dda4, v48
	v_mov_b32_e32 v18, v10
	v_fmac_f32_e32 v18, 0x3ed4b147, v47
	v_add_f32_e32 v18, v18, v9
	v_fma_f32 v9, v47, s0, -v10
	v_add_f32_e32 v10, v9, v19
	v_mul_f32_e32 v9, 0xbf7d64f0, v48
	v_mov_b32_e32 v19, v9
	s_movk_i32 s0, 0x2ec
	v_mov_b32_e32 v42, 2
	v_fmac_f32_e32 v19, 0xbe11bafb, v47
	v_mad_u32_u24 v27, v27, s0, 0
	v_lshlrev_b32_sdwa v41, v42, v41 dst_sel:DWORD dst_unused:UNUSED_PAD src0_sel:DWORD src1_sel:BYTE_0
	v_add_f32_e32 v19, v19, v43
	v_fma_f32 v9, v47, s1, -v9
	v_add3_u32 v41, v27, v41, v7
	v_add_u32_e32 v42, 0x200, v26
	v_add_u32_e32 v43, 0x800, v26
	v_add_f32_e32 v9, v9, v46
	ds_write2_b32 v41, v45, v20 offset1:17
	ds_write2_b32 v41, v25, v17 offset0:34 offset1:51
	ds_write2_b32 v41, v18, v19 offset0:68 offset1:85
	ds_write2_b32 v41, v9, v10 offset0:102 offset1:119
	ds_write2_b32 v41, v11, v12 offset0:136 offset1:153
	ds_write_b32 v41, v5 offset:680
	s_waitcnt lgkmcnt(0)
	s_barrier
	ds_read2_b32 v[17:18], v42 offset0:59 offset1:246
	ds_read2_b32 v[19:20], v43 offset0:49 offset1:236
	ds_read_b32 v25, v28
	ds_read_b32 v27, v26 offset:3740
	s_movk_i32 s0, 0x55
	v_cmp_gt_u32_e64 s[0:1], s0, v0
	s_and_saveexec_b64 s[4:5], s[0:1]
	s_cbranch_execz .LBB0_17
; %bb.16:
	v_add_u32_e32 v5, 0x100, v26
	ds_read2_b32 v[9:10], v5 offset0:38 offset1:225
	v_add_u32_e32 v5, 0x700, v26
	ds_read2_b32 v[11:12], v5 offset0:28 offset1:215
	;; [unrolled: 2-line block ×3, first 2 shown]
.LBB0_17:
	s_or_b64 exec, exec, s[4:5]
	v_add_f32_e32 v7, v23, v40
	v_add_f32_e32 v7, v7, v36
	;; [unrolled: 1-line block ×11, first 2 shown]
	v_sub_f32_e32 v37, v37, v39
	v_mul_f32_e32 v39, 0x3f575c64, v7
	v_mul_f32_e32 v44, 0x3ed4b147, v7
	;; [unrolled: 1-line block ×5, first 2 shown]
	v_mov_b32_e32 v40, v39
	v_mov_b32_e32 v46, v44
	;; [unrolled: 1-line block ×5, first 2 shown]
	v_fmac_f32_e32 v40, 0x3f0a6770, v37
	v_fmac_f32_e32 v39, 0xbf0a6770, v37
	;; [unrolled: 1-line block ×10, first 2 shown]
	v_add_f32_e32 v40, v23, v40
	v_add_f32_e32 v39, v23, v39
	;; [unrolled: 1-line block ×11, first 2 shown]
	v_sub_f32_e32 v34, v34, v35
	v_mul_f32_e32 v35, 0x3ed4b147, v23
	v_mov_b32_e32 v36, v35
	v_fmac_f32_e32 v35, 0xbf68dda4, v34
	v_mul_f32_e32 v37, 0xbf27a4f4, v23
	v_fmac_f32_e32 v36, 0x3f68dda4, v34
	v_add_f32_e32 v35, v35, v39
	v_mov_b32_e32 v38, v37
	v_fmac_f32_e32 v37, 0xbf4178ce, v34
	v_mul_f32_e32 v39, 0xbf75a155, v23
	v_add_f32_e32 v36, v36, v40
	v_add_f32_e32 v37, v37, v44
	v_mov_b32_e32 v40, v39
	v_fmac_f32_e32 v39, 0x3e903f40, v34
	v_mul_f32_e32 v44, 0xbe11bafb, v23
	v_mul_f32_e32 v23, 0x3f575c64, v23
	v_add_f32_e32 v39, v39, v47
	v_mov_b32_e32 v47, v23
	v_fmac_f32_e32 v23, 0x3f0a6770, v34
	v_add_f32_e32 v7, v23, v7
	v_add_f32_e32 v23, v32, v33
	v_fmac_f32_e32 v38, 0x3f4178ce, v34
	v_sub_f32_e32 v30, v30, v31
	v_mul_f32_e32 v31, 0xbe11bafb, v23
	v_add_f32_e32 v38, v38, v46
	v_mov_b32_e32 v46, v44
	v_mov_b32_e32 v32, v31
	v_fmac_f32_e32 v31, 0xbf7d64f0, v30
	v_mul_f32_e32 v33, 0xbf75a155, v23
	v_fmac_f32_e32 v40, 0xbe903f40, v34
	v_fmac_f32_e32 v46, 0xbf7d64f0, v34
	;; [unrolled: 1-line block ×5, first 2 shown]
	v_add_f32_e32 v31, v31, v35
	v_mov_b32_e32 v34, v33
	v_fmac_f32_e32 v33, 0x3e903f40, v30
	v_mul_f32_e32 v35, 0x3ed4b147, v23
	v_add_f32_e32 v32, v32, v36
	v_add_f32_e32 v33, v33, v37
	v_mov_b32_e32 v36, v35
	v_fmac_f32_e32 v35, 0x3f68dda4, v30
	v_mul_f32_e32 v37, 0x3f575c64, v23
	v_mul_f32_e32 v23, 0xbf27a4f4, v23
	v_add_f32_e32 v35, v35, v39
	v_mov_b32_e32 v39, v23
	v_fmac_f32_e32 v23, 0xbf4178ce, v30
	v_add_f32_e32 v7, v23, v7
	v_add_f32_e32 v23, v24, v29
	v_fmac_f32_e32 v34, 0xbe903f40, v30
	v_sub_f32_e32 v21, v21, v22
	v_mul_f32_e32 v22, 0xbf27a4f4, v23
	v_add_f32_e32 v34, v34, v38
	v_mov_b32_e32 v38, v37
	v_mov_b32_e32 v24, v22
	v_fmac_f32_e32 v22, 0xbf4178ce, v21
	v_mul_f32_e32 v29, 0xbe11bafb, v23
	v_fmac_f32_e32 v36, 0xbf68dda4, v30
	v_fmac_f32_e32 v38, 0x3f0a6770, v30
	;; [unrolled: 1-line block ×5, first 2 shown]
	v_add_f32_e32 v22, v22, v31
	v_mov_b32_e32 v30, v29
	v_fmac_f32_e32 v29, 0x3f7d64f0, v21
	v_mul_f32_e32 v31, 0x3f575c64, v23
	v_add_f32_e32 v24, v24, v32
	v_fmac_f32_e32 v30, 0xbf7d64f0, v21
	v_add_f32_e32 v29, v29, v33
	v_mov_b32_e32 v32, v31
	v_fmac_f32_e32 v31, 0xbf0a6770, v21
	v_mul_f32_e32 v33, 0xbf75a155, v23
	v_mul_f32_e32 v23, 0x3ed4b147, v23
	v_add_f32_e32 v30, v30, v34
	v_add_f32_e32 v31, v31, v35
	v_mov_b32_e32 v34, v33
	v_mov_b32_e32 v35, v23
	v_fmac_f32_e32 v23, 0x3f68dda4, v21
	v_fmac_f32_e32 v32, 0x3f0a6770, v21
	;; [unrolled: 1-line block ×5, first 2 shown]
	v_add_f32_e32 v21, v23, v7
	v_add_f32_e32 v23, v15, v16
	v_mul_f32_e32 v7, 0xbf75a155, v23
	v_sub_f32_e32 v13, v13, v14
	v_mov_b32_e32 v14, v7
	v_fmac_f32_e32 v14, 0x3e903f40, v13
	v_add_f32_e32 v24, v14, v24
	v_mul_f32_e32 v14, 0x3f575c64, v23
	v_mov_b32_e32 v15, v14
	v_fmac_f32_e32 v14, 0x3f0a6770, v13
	v_add_f32_e32 v40, v40, v48
	v_fmac_f32_e32 v7, 0xbe903f40, v13
	v_fmac_f32_e32 v15, 0xbf0a6770, v13
	v_add_f32_e32 v16, v14, v29
	v_mul_f32_e32 v14, 0xbf27a4f4, v23
	v_add_f32_e32 v36, v36, v40
	v_add_f32_e32 v7, v7, v22
	;; [unrolled: 1-line block ×3, first 2 shown]
	v_mov_b32_e32 v15, v14
	v_add_f32_e32 v32, v32, v36
	v_fmac_f32_e32 v15, 0x3f4178ce, v13
	v_fmac_f32_e32 v14, 0xbf4178ce, v13
	v_add_f32_e32 v46, v46, v50
	v_add_f32_e32 v44, v44, v49
	;; [unrolled: 1-line block ×5, first 2 shown]
	v_mul_f32_e32 v14, 0x3ed4b147, v23
	v_mul_f32_e32 v23, 0xbe11bafb, v23
	v_add_f32_e32 v38, v38, v46
	v_add_f32_e32 v37, v37, v44
	;; [unrolled: 1-line block ×3, first 2 shown]
	v_mov_b32_e32 v30, v14
	v_mov_b32_e32 v31, v23
	v_add_f32_e32 v34, v34, v38
	v_add_f32_e32 v33, v33, v37
	;; [unrolled: 1-line block ×3, first 2 shown]
	v_fmac_f32_e32 v30, 0xbf68dda4, v13
	v_fmac_f32_e32 v14, 0x3f68dda4, v13
	;; [unrolled: 1-line block ×4, first 2 shown]
	v_add_f32_e32 v30, v30, v34
	v_add_f32_e32 v14, v14, v33
	;; [unrolled: 1-line block ×4, first 2 shown]
	s_waitcnt lgkmcnt(0)
	s_barrier
	ds_write2_b32 v41, v45, v24 offset1:17
	ds_write2_b32 v41, v22, v29 offset0:34 offset1:51
	ds_write2_b32 v41, v30, v31 offset0:68 offset1:85
	;; [unrolled: 1-line block ×4, first 2 shown]
	ds_write_b32 v41, v7 offset:680
	s_waitcnt lgkmcnt(0)
	s_barrier
	ds_read2_b32 v[21:22], v42 offset0:59 offset1:246
	ds_read2_b32 v[23:24], v43 offset0:49 offset1:236
	ds_read_b32 v28, v28
	ds_read_b32 v29, v26 offset:3740
	s_and_saveexec_b64 s[4:5], s[0:1]
	s_cbranch_execz .LBB0_19
; %bb.18:
	v_add_u32_e32 v7, 0x100, v26
	ds_read2_b32 v[13:14], v7 offset0:38 offset1:225
	v_add_u32_e32 v7, 0x700, v26
	ds_read2_b32 v[15:16], v7 offset0:28 offset1:215
	;; [unrolled: 2-line block ×3, first 2 shown]
.LBB0_19:
	s_or_b64 exec, exec, s[4:5]
	s_and_saveexec_b64 s[4:5], vcc
	s_cbranch_execz .LBB0_22
; %bb.20:
	v_mul_u32_u24_e32 v26, 5, v0
	v_lshlrev_b32_e32 v26, 3, v26
	global_load_dwordx4 v[30:33], v26, s[8:9] offset:1360
	global_load_dwordx4 v[34:37], v26, s[8:9] offset:1376
	global_load_dwordx2 v[38:39], v26, s[8:9] offset:1392
	v_mad_u64_u32 v[40:41], s[4:5], s20, v0, 0
	v_mul_lo_u32 v43, s3, v3
	v_mul_lo_u32 v44, s2, v4
	v_mad_u64_u32 v[3:4], s[2:3], s2, v3, 0
	v_mov_b32_e32 v26, v41
	v_mad_u64_u32 v[41:42], s[2:3], s21, v0, v[26:27]
	v_add3_u32 v4, v4, v44, v43
	v_lshlrev_b64 v[3:4], 3, v[3:4]
	v_mov_b32_e32 v42, s15
	v_lshlrev_b64 v[1:2], 3, v[1:2]
	s_waitcnt vmcnt(2)
	v_mul_f32_e32 v26, v18, v33
	s_waitcnt lgkmcnt(3)
	v_mul_f32_e32 v33, v22, v33
	s_waitcnt vmcnt(1)
	v_mul_f32_e32 v45, v19, v34
	s_waitcnt vmcnt(0)
	v_mul_f32_e32 v46, v27, v38
	v_mul_f32_e32 v19, v19, v35
	;; [unrolled: 1-line block ×4, first 2 shown]
	s_waitcnt lgkmcnt(2)
	v_mul_f32_e32 v37, v24, v37
	v_mul_f32_e32 v44, v17, v30
	;; [unrolled: 1-line block ×3, first 2 shown]
	v_fmac_f32_e32 v33, v18, v32
	v_fma_f32 v18, v23, v34, -v19
	s_waitcnt lgkmcnt(0)
	v_fma_f32 v19, v29, v38, -v27
	v_fma_f32 v22, v22, v32, -v26
	;; [unrolled: 1-line block ×3, first 2 shown]
	v_fmac_f32_e32 v37, v20, v36
	v_fmac_f32_e32 v44, v21, v31
	v_fmac_f32_e32 v45, v23, v35
	v_fmac_f32_e32 v46, v29, v39
	v_fma_f32 v17, v21, v30, -v17
	v_add_f32_e32 v27, v18, v19
	v_add_f32_e32 v20, v22, v24
	v_sub_f32_e32 v21, v33, v37
	v_add_f32_e32 v23, v45, v46
	v_add_f32_e32 v30, v28, v22
	;; [unrolled: 1-line block ×5, first 2 shown]
	v_fma_f32 v27, -0.5, v27, v17
	v_sub_f32_e32 v26, v18, v19
	v_sub_f32_e32 v29, v45, v46
	v_add_f32_e32 v18, v17, v18
	v_fma_f32 v28, -0.5, v20, v28
	v_fma_f32 v23, -0.5, v23, v44
	v_add_f32_e32 v20, v30, v24
	v_add_f32_e32 v30, v33, v46
	v_mov_b32_e32 v33, v27
	v_sub_f32_e32 v22, v22, v24
	v_add_f32_e32 v19, v18, v19
	v_fma_f32 v25, -0.5, v31, v25
	v_add_f32_e32 v24, v32, v37
	v_mov_b32_e32 v32, v23
	v_fmac_f32_e32 v27, 0x3f5db3d7, v29
	v_fmac_f32_e32 v33, 0xbf5db3d7, v29
	v_mov_b32_e32 v31, v28
	v_fmac_f32_e32 v23, 0xbf5db3d7, v26
	v_sub_f32_e32 v18, v20, v19
	v_mov_b32_e32 v34, v25
	v_sub_f32_e32 v17, v24, v30
	v_add_f32_e32 v20, v20, v19
	v_add_f32_e32 v19, v24, v30
	v_fmac_f32_e32 v32, 0x3f5db3d7, v26
	v_mul_f32_e32 v24, 0.5, v27
	v_mul_f32_e32 v26, 0xbf5db3d7, v27
	v_mul_f32_e32 v27, -0.5, v33
	v_mul_f32_e32 v29, 0xbf5db3d7, v33
	v_fmac_f32_e32 v28, 0x3f5db3d7, v21
	v_fmac_f32_e32 v25, 0xbf5db3d7, v22
	;; [unrolled: 1-line block ×5, first 2 shown]
	v_fmac_f32_e32 v26, 0.5, v23
	v_fmac_f32_e32 v27, 0x3f5db3d7, v32
	v_fmac_f32_e32 v29, -0.5, v32
	v_sub_f32_e32 v22, v28, v24
	v_sub_f32_e32 v21, v25, v26
	v_add_f32_e32 v24, v28, v24
	v_add_f32_e32 v23, v25, v26
	v_sub_f32_e32 v26, v31, v27
	v_sub_f32_e32 v25, v34, v29
	v_add_f32_e32 v28, v31, v27
	v_add_f32_e32 v27, v34, v29
	v_add_co_u32_e32 v29, vcc, s14, v3
	v_addc_co_u32_e32 v30, vcc, v42, v4, vcc
	v_add_co_u32_e32 v1, vcc, v29, v1
	v_add_u32_e32 v31, 0xbb, v0
	v_addc_co_u32_e32 v2, vcc, v30, v2, vcc
	v_lshlrev_b64 v[29:30], 3, v[40:41]
	v_mad_u64_u32 v[3:4], s[2:3], s20, v31, 0
	v_add_co_u32_e32 v29, vcc, v1, v29
	v_addc_co_u32_e32 v30, vcc, v2, v30, vcc
	global_store_dwordx2 v[29:30], v[19:20], off
	v_add_u32_e32 v29, 0x176, v0
	v_mad_u64_u32 v[31:32], s[2:3], s21, v31, v[4:5]
	v_mad_u64_u32 v[19:20], s[2:3], s20, v29, 0
	v_mov_b32_e32 v4, v31
	v_add_u32_e32 v32, 0x231, v0
	v_mad_u64_u32 v[29:30], s[2:3], s21, v29, v[20:21]
	v_lshlrev_b64 v[3:4], 3, v[3:4]
	v_mad_u64_u32 v[30:31], s[2:3], s20, v32, 0
	v_add_co_u32_e32 v3, vcc, v1, v3
	v_addc_co_u32_e32 v4, vcc, v2, v4, vcc
	v_mov_b32_e32 v20, v29
	global_store_dwordx2 v[3:4], v[23:24], off
	v_lshlrev_b64 v[3:4], 3, v[19:20]
	v_mov_b32_e32 v19, v31
	v_mad_u64_u32 v[19:20], s[2:3], s21, v32, v[19:20]
	v_add_u32_e32 v23, 0x2ec, v0
	v_add_co_u32_e32 v3, vcc, v1, v3
	v_mov_b32_e32 v31, v19
	v_mad_u64_u32 v[19:20], s[2:3], s20, v23, 0
	v_addc_co_u32_e32 v4, vcc, v2, v4, vcc
	v_mad_u64_u32 v[23:24], s[2:3], s21, v23, v[20:21]
	v_add_u32_e32 v24, 0x3a7, v0
	global_store_dwordx2 v[3:4], v[27:28], off
	v_lshlrev_b64 v[3:4], 3, v[30:31]
	v_mad_u64_u32 v[27:28], s[2:3], s20, v24, 0
	v_add_co_u32_e32 v3, vcc, v1, v3
	v_addc_co_u32_e32 v4, vcc, v2, v4, vcc
	global_store_dwordx2 v[3:4], v[17:18], off
	v_mov_b32_e32 v17, v28
	v_mov_b32_e32 v20, v23
	v_mad_u64_u32 v[17:18], s[2:3], s21, v24, v[17:18]
	v_lshlrev_b64 v[3:4], 3, v[19:20]
	v_add_co_u32_e32 v3, vcc, v1, v3
	v_addc_co_u32_e32 v4, vcc, v2, v4, vcc
	v_mov_b32_e32 v28, v17
	global_store_dwordx2 v[3:4], v[21:22], off
	v_lshlrev_b64 v[3:4], 3, v[27:28]
	v_add_co_u32_e32 v3, vcc, v1, v3
	v_addc_co_u32_e32 v4, vcc, v2, v4, vcc
	global_store_dwordx2 v[3:4], v[25:26], off
	s_and_b64 exec, exec, s[0:1]
	s_cbranch_execz .LBB0_22
; %bb.21:
	v_add_u32_e32 v27, 0x66, v0
	v_add_u32_e32 v3, 0xffffffab, v0
	v_cndmask_b32_e64 v3, v3, v27, s[0:1]
	v_mul_i32_i24_e32 v3, 5, v3
	v_mov_b32_e32 v4, 0
	v_lshlrev_b64 v[3:4], 3, v[3:4]
	v_mov_b32_e32 v17, s9
	v_add_co_u32_e32 v3, vcc, s8, v3
	v_addc_co_u32_e32 v4, vcc, v17, v4, vcc
	global_load_dwordx4 v[17:20], v[3:4], off offset:1360
	global_load_dwordx4 v[21:24], v[3:4], off offset:1376
	global_load_dwordx2 v[25:26], v[3:4], off offset:1392
	v_mad_u64_u32 v[3:4], s[0:1], s20, v27, 0
	v_add_u32_e32 v30, 0x121, v0
	v_mad_u64_u32 v[27:28], s[0:1], s21, v27, v[4:5]
	v_mad_u64_u32 v[28:29], s[0:1], s20, v30, 0
	v_mov_b32_e32 v4, v27
	v_lshlrev_b64 v[3:4], 3, v[3:4]
	v_add_co_u32_e32 v3, vcc, v1, v3
	v_addc_co_u32_e32 v4, vcc, v2, v4, vcc
	s_waitcnt vmcnt(2)
	v_mul_f32_e32 v27, v14, v18
	v_mul_f32_e32 v18, v10, v18
	v_mul_f32_e32 v31, v15, v20
	s_waitcnt vmcnt(1)
	v_mul_f32_e32 v32, v16, v22
	v_mul_f32_e32 v22, v12, v22
	v_mul_f32_e32 v33, v7, v24
	;; [unrolled: 4-line block ×3, first 2 shown]
	v_mul_f32_e32 v24, v5, v24
	v_fmac_f32_e32 v27, v10, v17
	v_fma_f32 v10, v14, v17, -v18
	v_fmac_f32_e32 v31, v11, v19
	v_fmac_f32_e32 v32, v12, v21
	v_fma_f32 v12, v16, v21, -v22
	v_fmac_f32_e32 v33, v5, v23
	v_fmac_f32_e32 v34, v6, v25
	v_fma_f32 v6, v8, v25, -v26
	v_fma_f32 v11, v15, v19, -v20
	;; [unrolled: 1-line block ×3, first 2 shown]
	v_add_f32_e32 v8, v31, v33
	v_sub_f32_e32 v19, v12, v6
	v_add_f32_e32 v20, v10, v12
	v_add_f32_e32 v12, v12, v6
	;; [unrolled: 1-line block ×3, first 2 shown]
	v_sub_f32_e32 v14, v11, v5
	v_add_f32_e32 v15, v13, v11
	v_add_f32_e32 v11, v11, v5
	;; [unrolled: 1-line block ×4, first 2 shown]
	v_sub_f32_e32 v21, v32, v34
	v_fmac_f32_e32 v9, -0.5, v8
	v_fmac_f32_e32 v10, -0.5, v12
	v_add_f32_e32 v8, v15, v5
	v_fmac_f32_e32 v13, -0.5, v11
	v_add_f32_e32 v11, v17, v34
	;; [unrolled: 2-line block ×3, first 2 shown]
	v_mov_b32_e32 v17, v9
	v_mov_b32_e32 v20, v10
	v_fmac_f32_e32 v10, 0xbf5db3d7, v21
	v_sub_f32_e32 v16, v31, v33
	v_fmac_f32_e32 v9, 0x3f5db3d7, v14
	v_mov_b32_e32 v18, v13
	v_mov_b32_e32 v12, v27
	v_fmac_f32_e32 v27, 0x3f5db3d7, v19
	v_fmac_f32_e32 v17, 0xbf5db3d7, v14
	;; [unrolled: 1-line block ×3, first 2 shown]
	v_mul_f32_e32 v14, 0xbf5db3d7, v10
	v_fmac_f32_e32 v13, 0xbf5db3d7, v16
	v_add_f32_e32 v6, v8, v15
	v_sub_f32_e32 v8, v8, v15
	v_fmac_f32_e32 v18, 0x3f5db3d7, v16
	v_fmac_f32_e32 v12, 0xbf5db3d7, v19
	v_mul_f32_e32 v15, -0.5, v10
	v_mul_f32_e32 v16, 0xbf5db3d7, v20
	v_fmac_f32_e32 v14, -0.5, v27
	v_mul_f32_e32 v19, 0.5, v20
	v_add_f32_e32 v7, v7, v33
	v_fmac_f32_e32 v15, 0x3f5db3d7, v27
	v_fmac_f32_e32 v16, 0.5, v12
	v_add_f32_e32 v10, v9, v14
	v_fmac_f32_e32 v19, 0x3f5db3d7, v12
	v_sub_f32_e32 v12, v9, v14
	v_mov_b32_e32 v9, v29
	v_add_f32_e32 v5, v7, v11
	v_sub_f32_e32 v7, v7, v11
	v_add_f32_e32 v11, v13, v15
	v_sub_f32_e32 v13, v13, v15
	v_add_f32_e32 v14, v17, v16
	v_add_f32_e32 v15, v18, v19
	v_sub_f32_e32 v16, v17, v16
	v_sub_f32_e32 v17, v18, v19
	v_mad_u64_u32 v[18:19], s[0:1], s21, v30, v[9:10]
	v_add_u32_e32 v9, 0x1dc, v0
	global_store_dwordx2 v[3:4], v[5:6], off
	v_mad_u64_u32 v[5:6], s[0:1], s20, v9, 0
	v_mov_b32_e32 v29, v18
	v_lshlrev_b64 v[3:4], 3, v[28:29]
	v_mad_u64_u32 v[18:19], s[0:1], s21, v9, v[6:7]
	v_add_u32_e32 v9, 0x297, v0
	v_mad_u64_u32 v[19:20], s[0:1], s20, v9, 0
	v_add_co_u32_e32 v3, vcc, v1, v3
	v_addc_co_u32_e32 v4, vcc, v2, v4, vcc
	v_mov_b32_e32 v6, v18
	global_store_dwordx2 v[3:4], v[14:15], off
	v_lshlrev_b64 v[3:4], 3, v[5:6]
	v_mov_b32_e32 v5, v20
	v_mad_u64_u32 v[5:6], s[0:1], s21, v9, v[5:6]
	v_add_u32_e32 v9, 0x352, v0
	v_add_co_u32_e32 v3, vcc, v1, v3
	v_mov_b32_e32 v20, v5
	v_mad_u64_u32 v[5:6], s[0:1], s20, v9, 0
	v_addc_co_u32_e32 v4, vcc, v2, v4, vcc
	global_store_dwordx2 v[3:4], v[10:11], off
	v_mad_u64_u32 v[9:10], s[0:1], s21, v9, v[6:7]
	v_add_u32_e32 v14, 0x40d, v0
	v_mad_u64_u32 v[10:11], s[0:1], s20, v14, 0
	v_lshlrev_b64 v[3:4], 3, v[19:20]
	v_mov_b32_e32 v6, v9
	v_add_co_u32_e32 v3, vcc, v1, v3
	v_addc_co_u32_e32 v4, vcc, v2, v4, vcc
	v_mov_b32_e32 v0, v11
	global_store_dwordx2 v[3:4], v[7:8], off
	v_lshlrev_b64 v[3:4], 3, v[5:6]
	v_mad_u64_u32 v[5:6], s[0:1], s21, v14, v[0:1]
	v_add_co_u32_e32 v3, vcc, v1, v3
	v_addc_co_u32_e32 v4, vcc, v2, v4, vcc
	v_mov_b32_e32 v11, v5
	global_store_dwordx2 v[3:4], v[16:17], off
	v_lshlrev_b64 v[3:4], 3, v[10:11]
	v_add_co_u32_e32 v0, vcc, v1, v3
	v_addc_co_u32_e32 v1, vcc, v2, v4, vcc
	global_store_dwordx2 v[0:1], v[12:13], off
.LBB0_22:
	s_endpgm
	.section	.rodata,"a",@progbits
	.p2align	6, 0x0
	.amdhsa_kernel fft_rtc_back_len1122_factors_17_11_6_wgs_204_tpt_102_halfLds_sp_op_CI_CI_sbrr_dirReg
		.amdhsa_group_segment_fixed_size 0
		.amdhsa_private_segment_fixed_size 0
		.amdhsa_kernarg_size 104
		.amdhsa_user_sgpr_count 6
		.amdhsa_user_sgpr_private_segment_buffer 1
		.amdhsa_user_sgpr_dispatch_ptr 0
		.amdhsa_user_sgpr_queue_ptr 0
		.amdhsa_user_sgpr_kernarg_segment_ptr 1
		.amdhsa_user_sgpr_dispatch_id 0
		.amdhsa_user_sgpr_flat_scratch_init 0
		.amdhsa_user_sgpr_private_segment_size 0
		.amdhsa_uses_dynamic_stack 0
		.amdhsa_system_sgpr_private_segment_wavefront_offset 0
		.amdhsa_system_sgpr_workgroup_id_x 1
		.amdhsa_system_sgpr_workgroup_id_y 0
		.amdhsa_system_sgpr_workgroup_id_z 0
		.amdhsa_system_sgpr_workgroup_info 0
		.amdhsa_system_vgpr_workitem_id 0
		.amdhsa_next_free_vgpr 83
		.amdhsa_next_free_sgpr 32
		.amdhsa_reserve_vcc 1
		.amdhsa_reserve_flat_scratch 0
		.amdhsa_float_round_mode_32 0
		.amdhsa_float_round_mode_16_64 0
		.amdhsa_float_denorm_mode_32 3
		.amdhsa_float_denorm_mode_16_64 3
		.amdhsa_dx10_clamp 1
		.amdhsa_ieee_mode 1
		.amdhsa_fp16_overflow 0
		.amdhsa_exception_fp_ieee_invalid_op 0
		.amdhsa_exception_fp_denorm_src 0
		.amdhsa_exception_fp_ieee_div_zero 0
		.amdhsa_exception_fp_ieee_overflow 0
		.amdhsa_exception_fp_ieee_underflow 0
		.amdhsa_exception_fp_ieee_inexact 0
		.amdhsa_exception_int_div_zero 0
	.end_amdhsa_kernel
	.text
.Lfunc_end0:
	.size	fft_rtc_back_len1122_factors_17_11_6_wgs_204_tpt_102_halfLds_sp_op_CI_CI_sbrr_dirReg, .Lfunc_end0-fft_rtc_back_len1122_factors_17_11_6_wgs_204_tpt_102_halfLds_sp_op_CI_CI_sbrr_dirReg
                                        ; -- End function
	.section	.AMDGPU.csdata,"",@progbits
; Kernel info:
; codeLenInByte = 11800
; NumSgprs: 36
; NumVgprs: 83
; ScratchSize: 0
; MemoryBound: 0
; FloatMode: 240
; IeeeMode: 1
; LDSByteSize: 0 bytes/workgroup (compile time only)
; SGPRBlocks: 4
; VGPRBlocks: 20
; NumSGPRsForWavesPerEU: 36
; NumVGPRsForWavesPerEU: 83
; Occupancy: 3
; WaveLimiterHint : 1
; COMPUTE_PGM_RSRC2:SCRATCH_EN: 0
; COMPUTE_PGM_RSRC2:USER_SGPR: 6
; COMPUTE_PGM_RSRC2:TRAP_HANDLER: 0
; COMPUTE_PGM_RSRC2:TGID_X_EN: 1
; COMPUTE_PGM_RSRC2:TGID_Y_EN: 0
; COMPUTE_PGM_RSRC2:TGID_Z_EN: 0
; COMPUTE_PGM_RSRC2:TIDIG_COMP_CNT: 0
	.type	__hip_cuid_a3343d5604c1c479,@object ; @__hip_cuid_a3343d5604c1c479
	.section	.bss,"aw",@nobits
	.globl	__hip_cuid_a3343d5604c1c479
__hip_cuid_a3343d5604c1c479:
	.byte	0                               ; 0x0
	.size	__hip_cuid_a3343d5604c1c479, 1

	.ident	"AMD clang version 19.0.0git (https://github.com/RadeonOpenCompute/llvm-project roc-6.4.0 25133 c7fe45cf4b819c5991fe208aaa96edf142730f1d)"
	.section	".note.GNU-stack","",@progbits
	.addrsig
	.addrsig_sym __hip_cuid_a3343d5604c1c479
	.amdgpu_metadata
---
amdhsa.kernels:
  - .args:
      - .actual_access:  read_only
        .address_space:  global
        .offset:         0
        .size:           8
        .value_kind:     global_buffer
      - .offset:         8
        .size:           8
        .value_kind:     by_value
      - .actual_access:  read_only
        .address_space:  global
        .offset:         16
        .size:           8
        .value_kind:     global_buffer
      - .actual_access:  read_only
        .address_space:  global
        .offset:         24
        .size:           8
        .value_kind:     global_buffer
      - .actual_access:  read_only
        .address_space:  global
        .offset:         32
        .size:           8
        .value_kind:     global_buffer
      - .offset:         40
        .size:           8
        .value_kind:     by_value
      - .actual_access:  read_only
        .address_space:  global
        .offset:         48
        .size:           8
        .value_kind:     global_buffer
      - .actual_access:  read_only
        .address_space:  global
        .offset:         56
        .size:           8
        .value_kind:     global_buffer
      - .offset:         64
        .size:           4
        .value_kind:     by_value
      - .actual_access:  read_only
        .address_space:  global
        .offset:         72
        .size:           8
        .value_kind:     global_buffer
      - .actual_access:  read_only
        .address_space:  global
        .offset:         80
        .size:           8
        .value_kind:     global_buffer
      - .actual_access:  read_only
        .address_space:  global
        .offset:         88
        .size:           8
        .value_kind:     global_buffer
      - .actual_access:  write_only
        .address_space:  global
        .offset:         96
        .size:           8
        .value_kind:     global_buffer
    .group_segment_fixed_size: 0
    .kernarg_segment_align: 8
    .kernarg_segment_size: 104
    .language:       OpenCL C
    .language_version:
      - 2
      - 0
    .max_flat_workgroup_size: 204
    .name:           fft_rtc_back_len1122_factors_17_11_6_wgs_204_tpt_102_halfLds_sp_op_CI_CI_sbrr_dirReg
    .private_segment_fixed_size: 0
    .sgpr_count:     36
    .sgpr_spill_count: 0
    .symbol:         fft_rtc_back_len1122_factors_17_11_6_wgs_204_tpt_102_halfLds_sp_op_CI_CI_sbrr_dirReg.kd
    .uniform_work_group_size: 1
    .uses_dynamic_stack: false
    .vgpr_count:     83
    .vgpr_spill_count: 0
    .wavefront_size: 64
amdhsa.target:   amdgcn-amd-amdhsa--gfx906
amdhsa.version:
  - 1
  - 2
...

	.end_amdgpu_metadata
